;; amdgpu-corpus repo=ROCm/MIOpen kind=compiled arch=gfx1030 opt=O3
	.amdgcn_target "amdgcn-amd-amdhsa--gfx1030"
	.amdhsa_code_object_version 6
	.text
	.protected	check_numerics_fp32     ; -- Begin function check_numerics_fp32
	.globl	check_numerics_fp32
	.p2align	8
	.type	check_numerics_fp32,@function
check_numerics_fp32:                    ; @check_numerics_fp32
; %bb.0:
	s_clause 0x1
	s_load_dword s0, s[4:5], 0x20
	s_load_dwordx4 s[8:11], s[4:5], 0x8
	s_add_u32 s1, s4, 32
	s_addc_u32 s3, s5, 0
	v_mov_b32_e32 v1, 0
	v_mov_b32_e32 v4, 0x800000
	;; [unrolled: 1-line block ×4, first 2 shown]
	s_waitcnt lgkmcnt(0)
	s_cmp_lt_u32 s6, s0
	s_cselect_b32 s2, 12, 18
	s_add_u32 s2, s1, s2
	s_addc_u32 s3, s3, 0
	s_mov_b32 s1, exec_lo
	global_load_ushort v7, v1, s[2:3]
	s_mov_b32 s2, 0
	s_waitcnt vmcnt(0)
	v_mad_u64_u32 v[5:6], null, s6, v7, v[0:1]
	v_mov_b32_e32 v6, v1
	v_cmpx_gt_u64_e64 s[8:9], v[5:6]
	s_cbranch_execz .LBB0_10
; %bb.1:
	s_load_dwordx2 s[6:7], s[4:5], 0x0
	v_mul_lo_u32 v7, s0, v7
	v_lshlrev_b64 v[11:12], 2, v[5:6]
	v_mov_b32_e32 v8, 0
	v_mov_b32_e32 v4, 0x800000
	;; [unrolled: 1-line block ×6, first 2 shown]
	v_lshlrev_b64 v[9:10], 2, v[7:8]
	s_waitcnt lgkmcnt(0)
	v_add_co_u32 v11, vcc_lo, s6, v11
	v_add_co_ci_u32_e64 v12, null, s7, v12, vcc_lo
	s_inst_prefetch 0x1
	s_branch .LBB0_3
	.p2align	6
.LBB0_2:                                ;   in Loop: Header=BB0_3 Depth=1
	s_or_b32 exec_lo, exec_lo, s0
	v_add_co_u32 v5, vcc_lo, v5, v7
	v_add_co_ci_u32_e64 v6, null, 0, v6, vcc_lo
	v_max_f32_e32 v3, v3, v3
	v_max_f32_e32 v15, v14, v14
	v_max_f32_e32 v4, v4, v4
	v_cmp_le_u64_e32 vcc_lo, s[8:9], v[5:6]
	v_add_co_u32 v11, s0, v11, v9
	v_add_f32_e32 v1, v1, v14
	v_add_f32_e64 v2, v2, |v14|
	v_min_f32_e32 v3, v3, v15
	v_max_f32_e32 v4, v4, v15
	v_add_co_ci_u32_e64 v12, null, v12, v10, s0
	s_or_b32 s2, vcc_lo, s2
	s_andn2_b32 exec_lo, exec_lo, s2
	s_cbranch_execz .LBB0_9
.LBB0_3:                                ; =>This Inner Loop Header: Depth=1
	global_load_dword v14, v[11:12], off
	s_mov_b32 s0, exec_lo
	s_waitcnt vmcnt(0)
	v_cmpx_eq_f32_e32 0, v14
	s_cbranch_execz .LBB0_5
; %bb.4:                                ;   in Loop: Header=BB0_3 Depth=1
	global_store_dword v8, v13, s[10:11] offset:16
.LBB0_5:                                ;   in Loop: Header=BB0_3 Depth=1
	s_or_b32 exec_lo, exec_lo, s0
	s_mov_b32 s0, exec_lo
	v_cmpx_u_f32_e32 v14, v14
	s_cbranch_execz .LBB0_7
; %bb.6:                                ;   in Loop: Header=BB0_3 Depth=1
	global_store_dword v8, v13, s[10:11] offset:20
.LBB0_7:                                ;   in Loop: Header=BB0_3 Depth=1
	s_or_b32 exec_lo, exec_lo, s0
	v_cmp_class_f32_e64 s3, v14, 0x204
	s_and_saveexec_b32 s0, s3
	s_cbranch_execz .LBB0_2
; %bb.8:                                ;   in Loop: Header=BB0_3 Depth=1
	global_store_dword v8, v13, s[10:11] offset:24
	s_branch .LBB0_2
.LBB0_9:
	s_inst_prefetch 0x2
	s_or_b32 exec_lo, exec_lo, s2
.LBB0_10:
	s_or_b32 exec_lo, exec_lo, s1
	s_load_dword s0, s[4:5], 0x18
	s_waitcnt lgkmcnt(0)
	s_bitcmp1_b32 s0, 0
	s_cselect_b32 s0, -1, 0
	s_and_b32 vcc_lo, exec_lo, s0
	s_cbranch_vccz .LBB0_40
; %bb.11:
	v_lshlrev_b32_e32 v5, 4, v0
	s_mov_b32 s0, exec_lo
	ds_write_b128 v5, v[1:4]
	s_waitcnt lgkmcnt(0)
	s_waitcnt_vscnt null, 0x0
	s_barrier
	buffer_gl0_inv
	v_cmpx_gt_u32_e32 0x80, v0
	s_cbranch_execz .LBB0_13
; %bb.12:
	ds_read_b128 v[1:4], v5 offset:2048
	ds_read_b128 v[6:9], v5
	s_waitcnt lgkmcnt(1)
	v_max_f32_e32 v3, v3, v3
	s_waitcnt lgkmcnt(0)
	v_max_f32_e32 v8, v8, v8
	v_max_f32_e32 v4, v4, v4
	v_max_f32_e32 v9, v9, v9
	v_add_f32_e32 v1, v1, v6
	v_add_f32_e32 v2, v2, v7
	v_min_f32_e32 v3, v8, v3
	v_max_f32_e32 v4, v9, v4
	ds_write_b128 v5, v[1:4]
.LBB0_13:
	s_or_b32 exec_lo, exec_lo, s0
	s_mov_b32 s0, exec_lo
	s_waitcnt lgkmcnt(0)
	s_barrier
	buffer_gl0_inv
	v_cmpx_gt_u32_e32 64, v0
	s_cbranch_execz .LBB0_15
; %bb.14:
	ds_read_b128 v[1:4], v5 offset:1024
	ds_read_b128 v[6:9], v5
	s_waitcnt lgkmcnt(1)
	v_max_f32_e32 v3, v3, v3
	s_waitcnt lgkmcnt(0)
	v_max_f32_e32 v8, v8, v8
	v_max_f32_e32 v4, v4, v4
	v_max_f32_e32 v9, v9, v9
	v_add_f32_e32 v1, v1, v6
	v_add_f32_e32 v2, v2, v7
	v_min_f32_e32 v3, v8, v3
	v_max_f32_e32 v4, v9, v4
	ds_write_b128 v5, v[1:4]
.LBB0_15:
	s_or_b32 exec_lo, exec_lo, s0
	s_mov_b32 s0, exec_lo
	s_waitcnt lgkmcnt(0)
	;; [unrolled: 22-line block ×6, first 2 shown]
	s_barrier
	buffer_gl0_inv
	v_cmpx_gt_u32_e32 2, v0
	s_cbranch_execz .LBB0_25
; %bb.24:
	ds_read_b128 v[1:4], v5 offset:32
	ds_read_b128 v[6:9], v5
	s_waitcnt lgkmcnt(1)
	v_max_f32_e32 v3, v3, v3
	s_waitcnt lgkmcnt(0)
	v_max_f32_e32 v8, v8, v8
	v_max_f32_e32 v4, v4, v4
	;; [unrolled: 1-line block ×3, first 2 shown]
	v_add_f32_e32 v1, v1, v6
	v_add_f32_e32 v2, v2, v7
	v_min_f32_e32 v3, v8, v3
	v_max_f32_e32 v4, v9, v4
	ds_write_b128 v5, v[1:4]
.LBB0_25:
	s_or_b32 exec_lo, exec_lo, s0
	v_cmp_eq_u32_e32 vcc_lo, 0, v0
	s_waitcnt lgkmcnt(0)
	s_barrier
	buffer_gl0_inv
	s_and_saveexec_b32 s0, vcc_lo
	s_cbranch_execz .LBB0_27
; %bb.26:
	ds_read_b128 v[0:3], v5 offset:16
	ds_read_b128 v[6:9], v5
	s_waitcnt lgkmcnt(1)
	v_max_f32_e32 v2, v2, v2
	s_waitcnt lgkmcnt(0)
	v_max_f32_e32 v4, v8, v8
	v_max_f32_e32 v3, v3, v3
	;; [unrolled: 1-line block ×3, first 2 shown]
	v_add_f32_e32 v0, v0, v6
	v_add_f32_e32 v1, v1, v7
	v_min_f32_e32 v2, v4, v2
	v_max_f32_e32 v3, v8, v3
	ds_write_b128 v5, v[0:3]
.LBB0_27:
	s_or_b32 exec_lo, exec_lo, s0
	s_waitcnt lgkmcnt(0)
	s_barrier
	buffer_gl0_inv
	s_and_saveexec_b32 s0, vcc_lo
	s_cbranch_execz .LBB0_40
; %bb.28:
	s_mov_b32 s2, exec_lo
	s_mov_b32 s1, 0
	v_mbcnt_lo_u32_b32 v0, s2, 0
	s_mov_b32 s0, exec_lo
	v_cmpx_eq_u32_e32 0, v0
	s_cbranch_execz .LBB0_31
; %bb.29:
	v_mov_b32_e32 v2, 0
	s_load_dword s3, s[10:11], 0x0
	s_bcnt1_i32_b32 s2, s2
	v_cvt_f32_ubyte0_e32 v1, s2
	ds_read_b32 v0, v2
	s_waitcnt lgkmcnt(0)
	v_mul_f32_e32 v3, v0, v1
	v_mov_b32_e32 v1, s3
.LBB0_30:                               ; =>This Inner Loop Header: Depth=1
	v_add_f32_e32 v0, v1, v3
	global_atomic_cmpswap v0, v2, v[0:1], s[10:11] glc
	s_waitcnt vmcnt(0)
	v_cmp_eq_u32_e32 vcc_lo, v0, v1
	v_mov_b32_e32 v1, v0
	s_or_b32 s1, vcc_lo, s1
	s_andn2_b32 exec_lo, exec_lo, s1
	s_cbranch_execnz .LBB0_30
.LBB0_31:
	s_or_b32 exec_lo, exec_lo, s0
	s_mov_b32 s2, exec_lo
	s_mov_b32 s1, 0
	v_mbcnt_lo_u32_b32 v0, s2, 0
	s_mov_b32 s0, exec_lo
	v_cmpx_eq_u32_e32 0, v0
	s_cbranch_execz .LBB0_34
; %bb.32:
	v_mov_b32_e32 v2, 0
	s_load_dword s3, s[10:11], 0x4
	s_bcnt1_i32_b32 s2, s2
	v_cvt_f32_ubyte0_e32 v1, s2
	ds_read_b32 v0, v2 offset:4
	s_waitcnt lgkmcnt(0)
	v_mul_f32_e32 v3, v0, v1
	v_mov_b32_e32 v1, s3
.LBB0_33:                               ; =>This Inner Loop Header: Depth=1
	v_add_f32_e32 v0, v1, v3
	global_atomic_cmpswap v0, v2, v[0:1], s[10:11] offset:4 glc
	s_waitcnt vmcnt(0)
	v_cmp_eq_u32_e32 vcc_lo, v0, v1
	v_mov_b32_e32 v1, v0
	s_or_b32 s1, vcc_lo, s1
	s_andn2_b32 exec_lo, exec_lo, s1
	s_cbranch_execnz .LBB0_33
.LBB0_34:
	s_or_b32 exec_lo, exec_lo, s0
	v_mbcnt_lo_u32_b32 v0, exec_lo, 0
	s_mov_b32 s1, 0
	s_mov_b32 s0, exec_lo
	v_cmpx_eq_u32_e32 0, v0
	s_cbranch_execz .LBB0_37
; %bb.35:
	v_mov_b32_e32 v2, 0
	s_load_dword s2, s[10:11], 0x8
	ds_read_b32 v0, v2 offset:8
	s_waitcnt lgkmcnt(0)
	v_mov_b32_e32 v1, s2
	v_max_f32_e32 v3, v0, v0
.LBB0_36:                               ; =>This Inner Loop Header: Depth=1
	v_max_f32_e32 v0, v1, v1
	v_min_f32_e32 v0, v0, v3
	global_atomic_cmpswap v0, v2, v[0:1], s[10:11] offset:8 glc
	s_waitcnt vmcnt(0)
	v_cmp_eq_u32_e32 vcc_lo, v0, v1
	v_mov_b32_e32 v1, v0
	s_or_b32 s1, vcc_lo, s1
	s_andn2_b32 exec_lo, exec_lo, s1
	s_cbranch_execnz .LBB0_36
.LBB0_37:
	s_or_b32 exec_lo, exec_lo, s0
	v_mbcnt_lo_u32_b32 v0, exec_lo, 0
	s_mov_b32 s0, 0
	v_cmp_eq_u32_e32 vcc_lo, 0, v0
	s_and_b32 exec_lo, exec_lo, vcc_lo
	s_cbranch_execz .LBB0_40
; %bb.38:
	v_mov_b32_e32 v2, 0
	s_load_dword s1, s[10:11], 0xc
	ds_read_b32 v0, v2 offset:12
	s_waitcnt lgkmcnt(0)
	v_mov_b32_e32 v1, s1
	v_max_f32_e32 v3, v0, v0
.LBB0_39:                               ; =>This Inner Loop Header: Depth=1
	v_max_f32_e32 v0, v1, v1
	v_max_f32_e32 v0, v0, v3
	global_atomic_cmpswap v0, v2, v[0:1], s[10:11] offset:12 glc
	s_waitcnt vmcnt(0)
	v_cmp_eq_u32_e32 vcc_lo, v0, v1
	v_mov_b32_e32 v1, v0
	s_or_b32 s0, vcc_lo, s0
	s_andn2_b32 exec_lo, exec_lo, s0
	s_cbranch_execnz .LBB0_39
.LBB0_40:
	s_endpgm
	.section	.rodata,"a",@progbits
	.p2align	6, 0x0
	.amdhsa_kernel check_numerics_fp32
		.amdhsa_group_segment_fixed_size 4096
		.amdhsa_private_segment_fixed_size 0
		.amdhsa_kernarg_size 288
		.amdhsa_user_sgpr_count 6
		.amdhsa_user_sgpr_private_segment_buffer 1
		.amdhsa_user_sgpr_dispatch_ptr 0
		.amdhsa_user_sgpr_queue_ptr 0
		.amdhsa_user_sgpr_kernarg_segment_ptr 1
		.amdhsa_user_sgpr_dispatch_id 0
		.amdhsa_user_sgpr_flat_scratch_init 0
		.amdhsa_user_sgpr_private_segment_size 0
		.amdhsa_wavefront_size32 1
		.amdhsa_uses_dynamic_stack 0
		.amdhsa_system_sgpr_private_segment_wavefront_offset 0
		.amdhsa_system_sgpr_workgroup_id_x 1
		.amdhsa_system_sgpr_workgroup_id_y 0
		.amdhsa_system_sgpr_workgroup_id_z 0
		.amdhsa_system_sgpr_workgroup_info 0
		.amdhsa_system_vgpr_workitem_id 0
		.amdhsa_next_free_vgpr 16
		.amdhsa_next_free_sgpr 12
		.amdhsa_reserve_vcc 1
		.amdhsa_reserve_flat_scratch 0
		.amdhsa_float_round_mode_32 0
		.amdhsa_float_round_mode_16_64 0
		.amdhsa_float_denorm_mode_32 3
		.amdhsa_float_denorm_mode_16_64 3
		.amdhsa_dx10_clamp 1
		.amdhsa_ieee_mode 1
		.amdhsa_fp16_overflow 0
		.amdhsa_workgroup_processor_mode 1
		.amdhsa_memory_ordered 1
		.amdhsa_forward_progress 1
		.amdhsa_shared_vgpr_count 0
		.amdhsa_exception_fp_ieee_invalid_op 0
		.amdhsa_exception_fp_denorm_src 0
		.amdhsa_exception_fp_ieee_div_zero 0
		.amdhsa_exception_fp_ieee_overflow 0
		.amdhsa_exception_fp_ieee_underflow 0
		.amdhsa_exception_fp_ieee_inexact 0
		.amdhsa_exception_int_div_zero 0
	.end_amdhsa_kernel
	.text
.Lfunc_end0:
	.size	check_numerics_fp32, .Lfunc_end0-check_numerics_fp32
                                        ; -- End function
	.set check_numerics_fp32.num_vgpr, 16
	.set check_numerics_fp32.num_agpr, 0
	.set check_numerics_fp32.numbered_sgpr, 12
	.set check_numerics_fp32.num_named_barrier, 0
	.set check_numerics_fp32.private_seg_size, 0
	.set check_numerics_fp32.uses_vcc, 1
	.set check_numerics_fp32.uses_flat_scratch, 0
	.set check_numerics_fp32.has_dyn_sized_stack, 0
	.set check_numerics_fp32.has_recursion, 0
	.set check_numerics_fp32.has_indirect_call, 0
	.section	.AMDGPU.csdata,"",@progbits
; Kernel info:
; codeLenInByte = 1700
; TotalNumSgprs: 14
; NumVgprs: 16
; ScratchSize: 0
; MemoryBound: 0
; FloatMode: 240
; IeeeMode: 1
; LDSByteSize: 4096 bytes/workgroup (compile time only)
; SGPRBlocks: 0
; VGPRBlocks: 1
; NumSGPRsForWavesPerEU: 14
; NumVGPRsForWavesPerEU: 16
; Occupancy: 16
; WaveLimiterHint : 0
; COMPUTE_PGM_RSRC2:SCRATCH_EN: 0
; COMPUTE_PGM_RSRC2:USER_SGPR: 6
; COMPUTE_PGM_RSRC2:TRAP_HANDLER: 0
; COMPUTE_PGM_RSRC2:TGID_X_EN: 1
; COMPUTE_PGM_RSRC2:TGID_Y_EN: 0
; COMPUTE_PGM_RSRC2:TGID_Z_EN: 0
; COMPUTE_PGM_RSRC2:TIDIG_COMP_CNT: 0
	.text
	.protected	check_numerics_fp16     ; -- Begin function check_numerics_fp16
	.globl	check_numerics_fp16
	.p2align	8
	.type	check_numerics_fp16,@function
check_numerics_fp16:                    ; @check_numerics_fp16
; %bb.0:
	s_clause 0x1
	s_load_dword s0, s[4:5], 0x20
	s_load_dwordx4 s[8:11], s[4:5], 0x8
	s_add_u32 s1, s4, 32
	s_addc_u32 s3, s5, 0
	v_mov_b32_e32 v1, 0
	v_mov_b32_e32 v2, v1
	v_mov_b32_e32 v3, v1
	v_mov_b32_e32 v4, v1
	s_waitcnt lgkmcnt(0)
	s_cmp_lt_u32 s6, s0
	s_cselect_b32 s2, 12, 18
	s_add_u32 s2, s1, s2
	s_addc_u32 s3, s3, 0
	s_mov_b32 s1, exec_lo
	global_load_ushort v7, v1, s[2:3]
	s_mov_b32 s2, 0
	s_waitcnt vmcnt(0)
	v_mad_u64_u32 v[5:6], null, s6, v7, v[0:1]
	v_mov_b32_e32 v6, v1
	v_cmpx_gt_u64_e64 s[8:9], v[5:6]
	s_cbranch_execz .LBB1_10
; %bb.1:
	s_load_dwordx2 s[6:7], s[4:5], 0x0
	v_mul_lo_u32 v3, s0, v7
	v_lshlrev_b64 v[9:10], 1, v[5:6]
	v_mov_b32_e32 v4, 0
	v_mov_b32_e32 v11, 1
	;; [unrolled: 1-line block ×6, first 2 shown]
	v_lshlrev_b64 v[7:8], 1, v[3:4]
	s_waitcnt lgkmcnt(0)
	v_add_co_u32 v9, vcc_lo, s6, v9
	v_add_co_ci_u32_e64 v10, null, s7, v10, vcc_lo
	s_inst_prefetch 0x1
	s_branch .LBB1_3
	.p2align	6
.LBB1_2:                                ;   in Loop: Header=BB1_3 Depth=1
	s_or_b32 exec_lo, exec_lo, s0
	v_add_co_u32 v5, vcc_lo, v5, v3
	v_add_co_ci_u32_e64 v6, null, 0, v6, vcc_lo
	v_cmp_lt_f16_e32 vcc_lo, v12, v14
	v_add_co_u32 v9, s0, v9, v7
	v_add_f32_e32 v1, v1, v15
	v_add_f32_e64 v2, v2, |v15|
	v_cndmask_b32_e32 v12, v14, v12, vcc_lo
	v_cmp_gt_f16_e32 vcc_lo, v13, v14
	v_add_co_ci_u32_e64 v10, null, v10, v8, s0
	v_cndmask_b32_e32 v13, v14, v13, vcc_lo
	v_cmp_le_u64_e32 vcc_lo, s[8:9], v[5:6]
	s_or_b32 s2, vcc_lo, s2
	s_andn2_b32 exec_lo, exec_lo, s2
	s_cbranch_execz .LBB1_9
.LBB1_3:                                ; =>This Inner Loop Header: Depth=1
	global_load_ushort v14, v[9:10], off
	s_mov_b32 s0, exec_lo
	s_waitcnt vmcnt(0)
	v_cmpx_eq_f16_e32 0, v14
	s_cbranch_execz .LBB1_5
; %bb.4:                                ;   in Loop: Header=BB1_3 Depth=1
	global_store_dword v4, v11, s[10:11] offset:16
.LBB1_5:                                ;   in Loop: Header=BB1_3 Depth=1
	s_or_b32 exec_lo, exec_lo, s0
	s_mov_b32 s0, exec_lo
	v_cmpx_u_f16_e32 v14, v14
	s_cbranch_execz .LBB1_7
; %bb.6:                                ;   in Loop: Header=BB1_3 Depth=1
	global_store_dword v4, v11, s[10:11] offset:20
.LBB1_7:                                ;   in Loop: Header=BB1_3 Depth=1
	s_or_b32 exec_lo, exec_lo, s0
	v_cvt_f32_f16_e32 v15, v14
	v_cmp_class_f32_e64 s3, v15, 0x204
	s_and_saveexec_b32 s0, s3
	s_cbranch_execz .LBB1_2
; %bb.8:                                ;   in Loop: Header=BB1_3 Depth=1
	global_store_dword v4, v11, s[10:11] offset:24
	s_branch .LBB1_2
.LBB1_9:
	s_inst_prefetch 0x2
	s_or_b32 exec_lo, exec_lo, s2
	v_cvt_f32_f16_e32 v3, v12
	v_cvt_f32_f16_e32 v4, v13
.LBB1_10:
	s_or_b32 exec_lo, exec_lo, s1
	s_load_dword s0, s[4:5], 0x18
	s_waitcnt lgkmcnt(0)
	s_bitcmp1_b32 s0, 0
	s_cselect_b32 s0, -1, 0
	s_and_b32 vcc_lo, exec_lo, s0
	s_cbranch_vccz .LBB1_40
; %bb.11:
	v_lshlrev_b32_e32 v5, 4, v0
	s_mov_b32 s0, exec_lo
	ds_write_b128 v5, v[1:4]
	s_waitcnt lgkmcnt(0)
	s_waitcnt_vscnt null, 0x0
	s_barrier
	buffer_gl0_inv
	v_cmpx_gt_u32_e32 0x80, v0
	s_cbranch_execz .LBB1_13
; %bb.12:
	ds_read_b128 v[1:4], v5 offset:2048
	ds_read_b128 v[6:9], v5
	s_waitcnt lgkmcnt(1)
	v_max_f32_e32 v3, v3, v3
	s_waitcnt lgkmcnt(0)
	v_max_f32_e32 v8, v8, v8
	v_max_f32_e32 v4, v4, v4
	v_max_f32_e32 v9, v9, v9
	v_add_f32_e32 v1, v1, v6
	v_add_f32_e32 v2, v2, v7
	v_min_f32_e32 v3, v8, v3
	v_max_f32_e32 v4, v9, v4
	ds_write_b128 v5, v[1:4]
.LBB1_13:
	s_or_b32 exec_lo, exec_lo, s0
	s_mov_b32 s0, exec_lo
	s_waitcnt lgkmcnt(0)
	s_barrier
	buffer_gl0_inv
	v_cmpx_gt_u32_e32 64, v0
	s_cbranch_execz .LBB1_15
; %bb.14:
	ds_read_b128 v[1:4], v5 offset:1024
	ds_read_b128 v[6:9], v5
	s_waitcnt lgkmcnt(1)
	v_max_f32_e32 v3, v3, v3
	s_waitcnt lgkmcnt(0)
	v_max_f32_e32 v8, v8, v8
	v_max_f32_e32 v4, v4, v4
	v_max_f32_e32 v9, v9, v9
	v_add_f32_e32 v1, v1, v6
	v_add_f32_e32 v2, v2, v7
	v_min_f32_e32 v3, v8, v3
	v_max_f32_e32 v4, v9, v4
	ds_write_b128 v5, v[1:4]
.LBB1_15:
	s_or_b32 exec_lo, exec_lo, s0
	s_mov_b32 s0, exec_lo
	s_waitcnt lgkmcnt(0)
	s_barrier
	buffer_gl0_inv
	v_cmpx_gt_u32_e32 32, v0
	s_cbranch_execz .LBB1_17
; %bb.16:
	ds_read_b128 v[1:4], v5 offset:512
	ds_read_b128 v[6:9], v5
	s_waitcnt lgkmcnt(1)
	v_max_f32_e32 v3, v3, v3
	s_waitcnt lgkmcnt(0)
	v_max_f32_e32 v8, v8, v8
	v_max_f32_e32 v4, v4, v4
	v_max_f32_e32 v9, v9, v9
	v_add_f32_e32 v1, v1, v6
	v_add_f32_e32 v2, v2, v7
	v_min_f32_e32 v3, v8, v3
	v_max_f32_e32 v4, v9, v4
	ds_write_b128 v5, v[1:4]
.LBB1_17:
	s_or_b32 exec_lo, exec_lo, s0
	s_mov_b32 s0, exec_lo
	s_waitcnt lgkmcnt(0)
	s_barrier
	buffer_gl0_inv
	v_cmpx_gt_u32_e32 16, v0
	s_cbranch_execz .LBB1_19
; %bb.18:
	ds_read_b128 v[1:4], v5 offset:256
	ds_read_b128 v[6:9], v5
	s_waitcnt lgkmcnt(1)
	v_max_f32_e32 v3, v3, v3
	s_waitcnt lgkmcnt(0)
	v_max_f32_e32 v8, v8, v8
	v_max_f32_e32 v4, v4, v4
	v_max_f32_e32 v9, v9, v9
	v_add_f32_e32 v1, v1, v6
	v_add_f32_e32 v2, v2, v7
	v_min_f32_e32 v3, v8, v3
	v_max_f32_e32 v4, v9, v4
	ds_write_b128 v5, v[1:4]
.LBB1_19:
	s_or_b32 exec_lo, exec_lo, s0
	s_mov_b32 s0, exec_lo
	s_waitcnt lgkmcnt(0)
	s_barrier
	buffer_gl0_inv
	v_cmpx_gt_u32_e32 8, v0
	s_cbranch_execz .LBB1_21
; %bb.20:
	ds_read_b128 v[1:4], v5 offset:128
	ds_read_b128 v[6:9], v5
	s_waitcnt lgkmcnt(1)
	v_max_f32_e32 v3, v3, v3
	s_waitcnt lgkmcnt(0)
	v_max_f32_e32 v8, v8, v8
	v_max_f32_e32 v4, v4, v4
	v_max_f32_e32 v9, v9, v9
	v_add_f32_e32 v1, v1, v6
	v_add_f32_e32 v2, v2, v7
	v_min_f32_e32 v3, v8, v3
	v_max_f32_e32 v4, v9, v4
	ds_write_b128 v5, v[1:4]
.LBB1_21:
	s_or_b32 exec_lo, exec_lo, s0
	s_mov_b32 s0, exec_lo
	s_waitcnt lgkmcnt(0)
	s_barrier
	buffer_gl0_inv
	v_cmpx_gt_u32_e32 4, v0
	s_cbranch_execz .LBB1_23
; %bb.22:
	ds_read_b128 v[1:4], v5 offset:64
	ds_read_b128 v[6:9], v5
	s_waitcnt lgkmcnt(1)
	v_max_f32_e32 v3, v3, v3
	s_waitcnt lgkmcnt(0)
	v_max_f32_e32 v8, v8, v8
	v_max_f32_e32 v4, v4, v4
	v_max_f32_e32 v9, v9, v9
	v_add_f32_e32 v1, v1, v6
	v_add_f32_e32 v2, v2, v7
	v_min_f32_e32 v3, v8, v3
	v_max_f32_e32 v4, v9, v4
	ds_write_b128 v5, v[1:4]
.LBB1_23:
	s_or_b32 exec_lo, exec_lo, s0
	s_mov_b32 s0, exec_lo
	s_waitcnt lgkmcnt(0)
	s_barrier
	buffer_gl0_inv
	v_cmpx_gt_u32_e32 2, v0
	s_cbranch_execz .LBB1_25
; %bb.24:
	ds_read_b128 v[1:4], v5 offset:32
	ds_read_b128 v[6:9], v5
	s_waitcnt lgkmcnt(1)
	v_max_f32_e32 v3, v3, v3
	s_waitcnt lgkmcnt(0)
	v_max_f32_e32 v8, v8, v8
	v_max_f32_e32 v4, v4, v4
	;; [unrolled: 1-line block ×3, first 2 shown]
	v_add_f32_e32 v1, v1, v6
	v_add_f32_e32 v2, v2, v7
	v_min_f32_e32 v3, v8, v3
	v_max_f32_e32 v4, v9, v4
	ds_write_b128 v5, v[1:4]
.LBB1_25:
	s_or_b32 exec_lo, exec_lo, s0
	v_cmp_eq_u32_e32 vcc_lo, 0, v0
	s_waitcnt lgkmcnt(0)
	s_barrier
	buffer_gl0_inv
	s_and_saveexec_b32 s0, vcc_lo
	s_cbranch_execz .LBB1_27
; %bb.26:
	ds_read_b128 v[0:3], v5 offset:16
	ds_read_b128 v[6:9], v5
	s_waitcnt lgkmcnt(1)
	v_max_f32_e32 v2, v2, v2
	s_waitcnt lgkmcnt(0)
	v_max_f32_e32 v4, v8, v8
	v_max_f32_e32 v3, v3, v3
	;; [unrolled: 1-line block ×3, first 2 shown]
	v_add_f32_e32 v0, v0, v6
	v_add_f32_e32 v1, v1, v7
	v_min_f32_e32 v2, v4, v2
	v_max_f32_e32 v3, v8, v3
	ds_write_b128 v5, v[0:3]
.LBB1_27:
	s_or_b32 exec_lo, exec_lo, s0
	s_waitcnt lgkmcnt(0)
	s_barrier
	buffer_gl0_inv
	s_and_saveexec_b32 s0, vcc_lo
	s_cbranch_execz .LBB1_40
; %bb.28:
	s_mov_b32 s2, exec_lo
	s_mov_b32 s1, 0
	v_mbcnt_lo_u32_b32 v0, s2, 0
	s_mov_b32 s0, exec_lo
	v_cmpx_eq_u32_e32 0, v0
	s_cbranch_execz .LBB1_31
; %bb.29:
	v_mov_b32_e32 v2, 0
	s_load_dword s3, s[10:11], 0x0
	s_bcnt1_i32_b32 s2, s2
	v_cvt_f32_ubyte0_e32 v1, s2
	ds_read_b32 v0, v2
	s_waitcnt lgkmcnt(0)
	v_mul_f32_e32 v3, v0, v1
	v_mov_b32_e32 v1, s3
.LBB1_30:                               ; =>This Inner Loop Header: Depth=1
	v_add_f32_e32 v0, v1, v3
	global_atomic_cmpswap v0, v2, v[0:1], s[10:11] glc
	s_waitcnt vmcnt(0)
	v_cmp_eq_u32_e32 vcc_lo, v0, v1
	v_mov_b32_e32 v1, v0
	s_or_b32 s1, vcc_lo, s1
	s_andn2_b32 exec_lo, exec_lo, s1
	s_cbranch_execnz .LBB1_30
.LBB1_31:
	s_or_b32 exec_lo, exec_lo, s0
	s_mov_b32 s2, exec_lo
	s_mov_b32 s1, 0
	v_mbcnt_lo_u32_b32 v0, s2, 0
	s_mov_b32 s0, exec_lo
	v_cmpx_eq_u32_e32 0, v0
	s_cbranch_execz .LBB1_34
; %bb.32:
	v_mov_b32_e32 v2, 0
	s_load_dword s3, s[10:11], 0x4
	s_bcnt1_i32_b32 s2, s2
	v_cvt_f32_ubyte0_e32 v1, s2
	ds_read_b32 v0, v2 offset:4
	s_waitcnt lgkmcnt(0)
	v_mul_f32_e32 v3, v0, v1
	v_mov_b32_e32 v1, s3
.LBB1_33:                               ; =>This Inner Loop Header: Depth=1
	v_add_f32_e32 v0, v1, v3
	global_atomic_cmpswap v0, v2, v[0:1], s[10:11] offset:4 glc
	s_waitcnt vmcnt(0)
	v_cmp_eq_u32_e32 vcc_lo, v0, v1
	v_mov_b32_e32 v1, v0
	s_or_b32 s1, vcc_lo, s1
	s_andn2_b32 exec_lo, exec_lo, s1
	s_cbranch_execnz .LBB1_33
.LBB1_34:
	s_or_b32 exec_lo, exec_lo, s0
	v_mbcnt_lo_u32_b32 v0, exec_lo, 0
	s_mov_b32 s1, 0
	s_mov_b32 s0, exec_lo
	v_cmpx_eq_u32_e32 0, v0
	s_cbranch_execz .LBB1_37
; %bb.35:
	v_mov_b32_e32 v2, 0
	s_load_dword s2, s[10:11], 0x8
	ds_read_b32 v0, v2 offset:8
	s_waitcnt lgkmcnt(0)
	v_mov_b32_e32 v1, s2
	v_max_f32_e32 v3, v0, v0
.LBB1_36:                               ; =>This Inner Loop Header: Depth=1
	v_max_f32_e32 v0, v1, v1
	v_min_f32_e32 v0, v0, v3
	global_atomic_cmpswap v0, v2, v[0:1], s[10:11] offset:8 glc
	s_waitcnt vmcnt(0)
	v_cmp_eq_u32_e32 vcc_lo, v0, v1
	v_mov_b32_e32 v1, v0
	s_or_b32 s1, vcc_lo, s1
	s_andn2_b32 exec_lo, exec_lo, s1
	s_cbranch_execnz .LBB1_36
.LBB1_37:
	s_or_b32 exec_lo, exec_lo, s0
	v_mbcnt_lo_u32_b32 v0, exec_lo, 0
	s_mov_b32 s0, 0
	v_cmp_eq_u32_e32 vcc_lo, 0, v0
	s_and_b32 exec_lo, exec_lo, vcc_lo
	s_cbranch_execz .LBB1_40
; %bb.38:
	v_mov_b32_e32 v2, 0
	s_load_dword s1, s[10:11], 0xc
	ds_read_b32 v0, v2 offset:12
	s_waitcnt lgkmcnt(0)
	v_mov_b32_e32 v1, s1
	v_max_f32_e32 v3, v0, v0
.LBB1_39:                               ; =>This Inner Loop Header: Depth=1
	v_max_f32_e32 v0, v1, v1
	v_max_f32_e32 v0, v0, v3
	global_atomic_cmpswap v0, v2, v[0:1], s[10:11] offset:12 glc
	s_waitcnt vmcnt(0)
	v_cmp_eq_u32_e32 vcc_lo, v0, v1
	v_mov_b32_e32 v1, v0
	s_or_b32 s0, vcc_lo, s0
	s_andn2_b32 exec_lo, exec_lo, s0
	s_cbranch_execnz .LBB1_39
.LBB1_40:
	s_endpgm
	.section	.rodata,"a",@progbits
	.p2align	6, 0x0
	.amdhsa_kernel check_numerics_fp16
		.amdhsa_group_segment_fixed_size 4096
		.amdhsa_private_segment_fixed_size 0
		.amdhsa_kernarg_size 288
		.amdhsa_user_sgpr_count 6
		.amdhsa_user_sgpr_private_segment_buffer 1
		.amdhsa_user_sgpr_dispatch_ptr 0
		.amdhsa_user_sgpr_queue_ptr 0
		.amdhsa_user_sgpr_kernarg_segment_ptr 1
		.amdhsa_user_sgpr_dispatch_id 0
		.amdhsa_user_sgpr_flat_scratch_init 0
		.amdhsa_user_sgpr_private_segment_size 0
		.amdhsa_wavefront_size32 1
		.amdhsa_uses_dynamic_stack 0
		.amdhsa_system_sgpr_private_segment_wavefront_offset 0
		.amdhsa_system_sgpr_workgroup_id_x 1
		.amdhsa_system_sgpr_workgroup_id_y 0
		.amdhsa_system_sgpr_workgroup_id_z 0
		.amdhsa_system_sgpr_workgroup_info 0
		.amdhsa_system_vgpr_workitem_id 0
		.amdhsa_next_free_vgpr 16
		.amdhsa_next_free_sgpr 12
		.amdhsa_reserve_vcc 1
		.amdhsa_reserve_flat_scratch 0
		.amdhsa_float_round_mode_32 0
		.amdhsa_float_round_mode_16_64 0
		.amdhsa_float_denorm_mode_32 3
		.amdhsa_float_denorm_mode_16_64 3
		.amdhsa_dx10_clamp 1
		.amdhsa_ieee_mode 1
		.amdhsa_fp16_overflow 0
		.amdhsa_workgroup_processor_mode 1
		.amdhsa_memory_ordered 1
		.amdhsa_forward_progress 1
		.amdhsa_shared_vgpr_count 0
		.amdhsa_exception_fp_ieee_invalid_op 0
		.amdhsa_exception_fp_denorm_src 0
		.amdhsa_exception_fp_ieee_div_zero 0
		.amdhsa_exception_fp_ieee_overflow 0
		.amdhsa_exception_fp_ieee_underflow 0
		.amdhsa_exception_fp_ieee_inexact 0
		.amdhsa_exception_int_div_zero 0
	.end_amdhsa_kernel
	.text
.Lfunc_end1:
	.size	check_numerics_fp16, .Lfunc_end1-check_numerics_fp16
                                        ; -- End function
	.set check_numerics_fp16.num_vgpr, 16
	.set check_numerics_fp16.num_agpr, 0
	.set check_numerics_fp16.numbered_sgpr, 12
	.set check_numerics_fp16.num_named_barrier, 0
	.set check_numerics_fp16.private_seg_size, 0
	.set check_numerics_fp16.uses_vcc, 1
	.set check_numerics_fp16.uses_flat_scratch, 0
	.set check_numerics_fp16.has_dyn_sized_stack, 0
	.set check_numerics_fp16.has_recursion, 0
	.set check_numerics_fp16.has_indirect_call, 0
	.section	.AMDGPU.csdata,"",@progbits
; Kernel info:
; codeLenInByte = 1644
; TotalNumSgprs: 14
; NumVgprs: 16
; ScratchSize: 0
; MemoryBound: 0
; FloatMode: 240
; IeeeMode: 1
; LDSByteSize: 4096 bytes/workgroup (compile time only)
; SGPRBlocks: 0
; VGPRBlocks: 1
; NumSGPRsForWavesPerEU: 14
; NumVGPRsForWavesPerEU: 16
; Occupancy: 16
; WaveLimiterHint : 0
; COMPUTE_PGM_RSRC2:SCRATCH_EN: 0
; COMPUTE_PGM_RSRC2:USER_SGPR: 6
; COMPUTE_PGM_RSRC2:TRAP_HANDLER: 0
; COMPUTE_PGM_RSRC2:TGID_X_EN: 1
; COMPUTE_PGM_RSRC2:TGID_Y_EN: 0
; COMPUTE_PGM_RSRC2:TGID_Z_EN: 0
; COMPUTE_PGM_RSRC2:TIDIG_COMP_CNT: 0
	.text
	.protected	check_numerics_bf16     ; -- Begin function check_numerics_bf16
	.globl	check_numerics_bf16
	.p2align	8
	.type	check_numerics_bf16,@function
check_numerics_bf16:                    ; @check_numerics_bf16
; %bb.0:
	s_clause 0x1
	s_load_dword s0, s[4:5], 0x20
	s_load_dwordx4 s[8:11], s[4:5], 0x8
	s_add_u32 s1, s4, 32
	s_addc_u32 s3, s5, 0
	v_mov_b32_e32 v1, 0
	v_mov_b32_e32 v2, v1
	;; [unrolled: 1-line block ×4, first 2 shown]
	s_waitcnt lgkmcnt(0)
	s_cmp_lt_u32 s6, s0
	s_cselect_b32 s2, 12, 18
	s_add_u32 s2, s1, s2
	s_addc_u32 s3, s3, 0
	s_mov_b32 s1, exec_lo
	global_load_ushort v7, v1, s[2:3]
	s_mov_b32 s2, 0
	s_waitcnt vmcnt(0)
	v_mad_u64_u32 v[5:6], null, s6, v7, v[0:1]
	v_mov_b32_e32 v6, v1
	v_cmpx_gt_u64_e64 s[8:9], v[5:6]
	s_cbranch_execz .LBB2_10
; %bb.1:
	s_load_dwordx2 s[6:7], s[4:5], 0x0
	v_mul_lo_u32 v3, s0, v7
	v_lshlrev_b64 v[9:10], 1, v[5:6]
	v_mov_b32_e32 v4, 0
	v_mov_b32_e32 v11, 1
	v_mov_b32_e32 v1, 0
	v_mov_b32_e32 v2, 0
	v_mov_b32_e32 v12, 0
	v_mov_b32_e32 v13, 0
	v_lshlrev_b64 v[7:8], 1, v[3:4]
	s_waitcnt lgkmcnt(0)
	v_add_co_u32 v9, vcc_lo, s6, v9
	v_add_co_ci_u32_e64 v10, null, s7, v10, vcc_lo
	s_inst_prefetch 0x1
	s_branch .LBB2_3
	.p2align	6
.LBB2_2:                                ;   in Loop: Header=BB2_3 Depth=1
	s_or_b32 exec_lo, exec_lo, s0
	v_lshlrev_b32_e32 v17, 16, v12
	v_add_co_u32 v5, vcc_lo, v5, v3
	v_lshlrev_b32_e32 v16, 16, v13
	v_add_co_ci_u32_e64 v6, null, 0, v6, vcc_lo
	v_cmp_gt_f32_e32 vcc_lo, v15, v17
	v_add_co_u32 v9, s0, v9, v7
	v_add_f32_e32 v1, v1, v15
	v_add_f32_e64 v2, v2, |v15|
	v_cndmask_b32_e32 v12, v14, v12, vcc_lo
	v_cmp_lt_f32_e32 vcc_lo, v15, v16
	v_add_co_ci_u32_e64 v10, null, v10, v8, s0
	v_cndmask_b32_e32 v13, v14, v13, vcc_lo
	v_cmp_le_u64_e32 vcc_lo, s[8:9], v[5:6]
	s_or_b32 s2, vcc_lo, s2
	s_andn2_b32 exec_lo, exec_lo, s2
	s_cbranch_execz .LBB2_9
.LBB2_3:                                ; =>This Inner Loop Header: Depth=1
	global_load_ushort v14, v[9:10], off
	s_mov_b32 s0, exec_lo
	s_waitcnt vmcnt(0)
	v_lshlrev_b32_e32 v15, 16, v14
	v_cmpx_eq_f32_e32 0, v15
	s_cbranch_execz .LBB2_5
; %bb.4:                                ;   in Loop: Header=BB2_3 Depth=1
	global_store_dword v4, v11, s[10:11] offset:16
.LBB2_5:                                ;   in Loop: Header=BB2_3 Depth=1
	s_or_b32 exec_lo, exec_lo, s0
	s_mov_b32 s0, exec_lo
	v_cmpx_u_f32_e32 v15, v15
	s_cbranch_execz .LBB2_7
; %bb.6:                                ;   in Loop: Header=BB2_3 Depth=1
	global_store_dword v4, v11, s[10:11] offset:20
.LBB2_7:                                ;   in Loop: Header=BB2_3 Depth=1
	s_or_b32 exec_lo, exec_lo, s0
	v_cmp_class_f32_e64 s3, v15, 0x204
	s_and_saveexec_b32 s0, s3
	s_cbranch_execz .LBB2_2
; %bb.8:                                ;   in Loop: Header=BB2_3 Depth=1
	global_store_dword v4, v11, s[10:11] offset:24
	s_branch .LBB2_2
.LBB2_9:
	s_inst_prefetch 0x2
	s_or_b32 exec_lo, exec_lo, s2
	v_lshlrev_b32_e32 v3, 16, v12
	v_lshlrev_b32_e32 v4, 16, v13
.LBB2_10:
	s_or_b32 exec_lo, exec_lo, s1
	s_load_dword s0, s[4:5], 0x18
	s_waitcnt lgkmcnt(0)
	s_bitcmp1_b32 s0, 0
	s_cselect_b32 s0, -1, 0
	s_and_b32 vcc_lo, exec_lo, s0
	s_cbranch_vccz .LBB2_40
; %bb.11:
	v_lshlrev_b32_e32 v5, 4, v0
	s_mov_b32 s0, exec_lo
	ds_write_b128 v5, v[1:4]
	s_waitcnt lgkmcnt(0)
	s_waitcnt_vscnt null, 0x0
	s_barrier
	buffer_gl0_inv
	v_cmpx_gt_u32_e32 0x80, v0
	s_cbranch_execz .LBB2_13
; %bb.12:
	ds_read_b128 v[1:4], v5 offset:2048
	ds_read_b128 v[6:9], v5
	s_waitcnt lgkmcnt(1)
	v_max_f32_e32 v3, v3, v3
	s_waitcnt lgkmcnt(0)
	v_max_f32_e32 v8, v8, v8
	v_max_f32_e32 v4, v4, v4
	v_max_f32_e32 v9, v9, v9
	v_add_f32_e32 v1, v1, v6
	v_add_f32_e32 v2, v2, v7
	v_min_f32_e32 v3, v8, v3
	v_max_f32_e32 v4, v9, v4
	ds_write_b128 v5, v[1:4]
.LBB2_13:
	s_or_b32 exec_lo, exec_lo, s0
	s_mov_b32 s0, exec_lo
	s_waitcnt lgkmcnt(0)
	s_barrier
	buffer_gl0_inv
	v_cmpx_gt_u32_e32 64, v0
	s_cbranch_execz .LBB2_15
; %bb.14:
	ds_read_b128 v[1:4], v5 offset:1024
	ds_read_b128 v[6:9], v5
	s_waitcnt lgkmcnt(1)
	v_max_f32_e32 v3, v3, v3
	s_waitcnt lgkmcnt(0)
	v_max_f32_e32 v8, v8, v8
	v_max_f32_e32 v4, v4, v4
	v_max_f32_e32 v9, v9, v9
	v_add_f32_e32 v1, v1, v6
	v_add_f32_e32 v2, v2, v7
	v_min_f32_e32 v3, v8, v3
	v_max_f32_e32 v4, v9, v4
	ds_write_b128 v5, v[1:4]
.LBB2_15:
	s_or_b32 exec_lo, exec_lo, s0
	s_mov_b32 s0, exec_lo
	s_waitcnt lgkmcnt(0)
	;; [unrolled: 22-line block ×6, first 2 shown]
	s_barrier
	buffer_gl0_inv
	v_cmpx_gt_u32_e32 2, v0
	s_cbranch_execz .LBB2_25
; %bb.24:
	ds_read_b128 v[1:4], v5 offset:32
	ds_read_b128 v[6:9], v5
	s_waitcnt lgkmcnt(1)
	v_max_f32_e32 v3, v3, v3
	s_waitcnt lgkmcnt(0)
	v_max_f32_e32 v8, v8, v8
	v_max_f32_e32 v4, v4, v4
	;; [unrolled: 1-line block ×3, first 2 shown]
	v_add_f32_e32 v1, v1, v6
	v_add_f32_e32 v2, v2, v7
	v_min_f32_e32 v3, v8, v3
	v_max_f32_e32 v4, v9, v4
	ds_write_b128 v5, v[1:4]
.LBB2_25:
	s_or_b32 exec_lo, exec_lo, s0
	v_cmp_eq_u32_e32 vcc_lo, 0, v0
	s_waitcnt lgkmcnt(0)
	s_barrier
	buffer_gl0_inv
	s_and_saveexec_b32 s0, vcc_lo
	s_cbranch_execz .LBB2_27
; %bb.26:
	ds_read_b128 v[0:3], v5 offset:16
	ds_read_b128 v[6:9], v5
	s_waitcnt lgkmcnt(1)
	v_max_f32_e32 v2, v2, v2
	s_waitcnt lgkmcnt(0)
	v_max_f32_e32 v4, v8, v8
	v_max_f32_e32 v3, v3, v3
	;; [unrolled: 1-line block ×3, first 2 shown]
	v_add_f32_e32 v0, v0, v6
	v_add_f32_e32 v1, v1, v7
	v_min_f32_e32 v2, v4, v2
	v_max_f32_e32 v3, v8, v3
	ds_write_b128 v5, v[0:3]
.LBB2_27:
	s_or_b32 exec_lo, exec_lo, s0
	s_waitcnt lgkmcnt(0)
	s_barrier
	buffer_gl0_inv
	s_and_saveexec_b32 s0, vcc_lo
	s_cbranch_execz .LBB2_40
; %bb.28:
	s_mov_b32 s2, exec_lo
	s_mov_b32 s1, 0
	v_mbcnt_lo_u32_b32 v0, s2, 0
	s_mov_b32 s0, exec_lo
	v_cmpx_eq_u32_e32 0, v0
	s_cbranch_execz .LBB2_31
; %bb.29:
	v_mov_b32_e32 v2, 0
	s_load_dword s3, s[10:11], 0x0
	s_bcnt1_i32_b32 s2, s2
	v_cvt_f32_ubyte0_e32 v1, s2
	ds_read_b32 v0, v2
	s_waitcnt lgkmcnt(0)
	v_mul_f32_e32 v3, v0, v1
	v_mov_b32_e32 v1, s3
.LBB2_30:                               ; =>This Inner Loop Header: Depth=1
	v_add_f32_e32 v0, v1, v3
	global_atomic_cmpswap v0, v2, v[0:1], s[10:11] glc
	s_waitcnt vmcnt(0)
	v_cmp_eq_u32_e32 vcc_lo, v0, v1
	v_mov_b32_e32 v1, v0
	s_or_b32 s1, vcc_lo, s1
	s_andn2_b32 exec_lo, exec_lo, s1
	s_cbranch_execnz .LBB2_30
.LBB2_31:
	s_or_b32 exec_lo, exec_lo, s0
	s_mov_b32 s2, exec_lo
	s_mov_b32 s1, 0
	v_mbcnt_lo_u32_b32 v0, s2, 0
	s_mov_b32 s0, exec_lo
	v_cmpx_eq_u32_e32 0, v0
	s_cbranch_execz .LBB2_34
; %bb.32:
	v_mov_b32_e32 v2, 0
	s_load_dword s3, s[10:11], 0x4
	s_bcnt1_i32_b32 s2, s2
	v_cvt_f32_ubyte0_e32 v1, s2
	ds_read_b32 v0, v2 offset:4
	s_waitcnt lgkmcnt(0)
	v_mul_f32_e32 v3, v0, v1
	v_mov_b32_e32 v1, s3
.LBB2_33:                               ; =>This Inner Loop Header: Depth=1
	v_add_f32_e32 v0, v1, v3
	global_atomic_cmpswap v0, v2, v[0:1], s[10:11] offset:4 glc
	s_waitcnt vmcnt(0)
	v_cmp_eq_u32_e32 vcc_lo, v0, v1
	v_mov_b32_e32 v1, v0
	s_or_b32 s1, vcc_lo, s1
	s_andn2_b32 exec_lo, exec_lo, s1
	s_cbranch_execnz .LBB2_33
.LBB2_34:
	s_or_b32 exec_lo, exec_lo, s0
	v_mbcnt_lo_u32_b32 v0, exec_lo, 0
	s_mov_b32 s1, 0
	s_mov_b32 s0, exec_lo
	v_cmpx_eq_u32_e32 0, v0
	s_cbranch_execz .LBB2_37
; %bb.35:
	v_mov_b32_e32 v2, 0
	s_load_dword s2, s[10:11], 0x8
	ds_read_b32 v0, v2 offset:8
	s_waitcnt lgkmcnt(0)
	v_mov_b32_e32 v1, s2
	v_max_f32_e32 v3, v0, v0
.LBB2_36:                               ; =>This Inner Loop Header: Depth=1
	v_max_f32_e32 v0, v1, v1
	v_min_f32_e32 v0, v0, v3
	global_atomic_cmpswap v0, v2, v[0:1], s[10:11] offset:8 glc
	s_waitcnt vmcnt(0)
	v_cmp_eq_u32_e32 vcc_lo, v0, v1
	v_mov_b32_e32 v1, v0
	s_or_b32 s1, vcc_lo, s1
	s_andn2_b32 exec_lo, exec_lo, s1
	s_cbranch_execnz .LBB2_36
.LBB2_37:
	s_or_b32 exec_lo, exec_lo, s0
	v_mbcnt_lo_u32_b32 v0, exec_lo, 0
	s_mov_b32 s0, 0
	v_cmp_eq_u32_e32 vcc_lo, 0, v0
	s_and_b32 exec_lo, exec_lo, vcc_lo
	s_cbranch_execz .LBB2_40
; %bb.38:
	v_mov_b32_e32 v2, 0
	s_load_dword s1, s[10:11], 0xc
	ds_read_b32 v0, v2 offset:12
	s_waitcnt lgkmcnt(0)
	v_mov_b32_e32 v1, s1
	v_max_f32_e32 v3, v0, v0
.LBB2_39:                               ; =>This Inner Loop Header: Depth=1
	v_max_f32_e32 v0, v1, v1
	v_max_f32_e32 v0, v0, v3
	global_atomic_cmpswap v0, v2, v[0:1], s[10:11] offset:12 glc
	s_waitcnt vmcnt(0)
	v_cmp_eq_u32_e32 vcc_lo, v0, v1
	v_mov_b32_e32 v1, v0
	s_or_b32 s0, vcc_lo, s0
	s_andn2_b32 exec_lo, exec_lo, s0
	s_cbranch_execnz .LBB2_39
.LBB2_40:
	s_endpgm
	.section	.rodata,"a",@progbits
	.p2align	6, 0x0
	.amdhsa_kernel check_numerics_bf16
		.amdhsa_group_segment_fixed_size 4096
		.amdhsa_private_segment_fixed_size 0
		.amdhsa_kernarg_size 288
		.amdhsa_user_sgpr_count 6
		.amdhsa_user_sgpr_private_segment_buffer 1
		.amdhsa_user_sgpr_dispatch_ptr 0
		.amdhsa_user_sgpr_queue_ptr 0
		.amdhsa_user_sgpr_kernarg_segment_ptr 1
		.amdhsa_user_sgpr_dispatch_id 0
		.amdhsa_user_sgpr_flat_scratch_init 0
		.amdhsa_user_sgpr_private_segment_size 0
		.amdhsa_wavefront_size32 1
		.amdhsa_uses_dynamic_stack 0
		.amdhsa_system_sgpr_private_segment_wavefront_offset 0
		.amdhsa_system_sgpr_workgroup_id_x 1
		.amdhsa_system_sgpr_workgroup_id_y 0
		.amdhsa_system_sgpr_workgroup_id_z 0
		.amdhsa_system_sgpr_workgroup_info 0
		.amdhsa_system_vgpr_workitem_id 0
		.amdhsa_next_free_vgpr 18
		.amdhsa_next_free_sgpr 12
		.amdhsa_reserve_vcc 1
		.amdhsa_reserve_flat_scratch 0
		.amdhsa_float_round_mode_32 0
		.amdhsa_float_round_mode_16_64 0
		.amdhsa_float_denorm_mode_32 3
		.amdhsa_float_denorm_mode_16_64 3
		.amdhsa_dx10_clamp 1
		.amdhsa_ieee_mode 1
		.amdhsa_fp16_overflow 0
		.amdhsa_workgroup_processor_mode 1
		.amdhsa_memory_ordered 1
		.amdhsa_forward_progress 1
		.amdhsa_shared_vgpr_count 0
		.amdhsa_exception_fp_ieee_invalid_op 0
		.amdhsa_exception_fp_denorm_src 0
		.amdhsa_exception_fp_ieee_div_zero 0
		.amdhsa_exception_fp_ieee_overflow 0
		.amdhsa_exception_fp_ieee_underflow 0
		.amdhsa_exception_fp_ieee_inexact 0
		.amdhsa_exception_int_div_zero 0
	.end_amdhsa_kernel
	.text
.Lfunc_end2:
	.size	check_numerics_bf16, .Lfunc_end2-check_numerics_bf16
                                        ; -- End function
	.set check_numerics_bf16.num_vgpr, 18
	.set check_numerics_bf16.num_agpr, 0
	.set check_numerics_bf16.numbered_sgpr, 12
	.set check_numerics_bf16.num_named_barrier, 0
	.set check_numerics_bf16.private_seg_size, 0
	.set check_numerics_bf16.uses_vcc, 1
	.set check_numerics_bf16.uses_flat_scratch, 0
	.set check_numerics_bf16.has_dyn_sized_stack, 0
	.set check_numerics_bf16.has_recursion, 0
	.set check_numerics_bf16.has_indirect_call, 0
	.section	.AMDGPU.csdata,"",@progbits
; Kernel info:
; codeLenInByte = 1652
; TotalNumSgprs: 14
; NumVgprs: 18
; ScratchSize: 0
; MemoryBound: 0
; FloatMode: 240
; IeeeMode: 1
; LDSByteSize: 4096 bytes/workgroup (compile time only)
; SGPRBlocks: 0
; VGPRBlocks: 2
; NumSGPRsForWavesPerEU: 14
; NumVGPRsForWavesPerEU: 18
; Occupancy: 16
; WaveLimiterHint : 0
; COMPUTE_PGM_RSRC2:SCRATCH_EN: 0
; COMPUTE_PGM_RSRC2:USER_SGPR: 6
; COMPUTE_PGM_RSRC2:TRAP_HANDLER: 0
; COMPUTE_PGM_RSRC2:TGID_X_EN: 1
; COMPUTE_PGM_RSRC2:TGID_Y_EN: 0
; COMPUTE_PGM_RSRC2:TGID_Z_EN: 0
; COMPUTE_PGM_RSRC2:TIDIG_COMP_CNT: 0
	.text
	.protected	check_numerics_fp8      ; -- Begin function check_numerics_fp8
	.globl	check_numerics_fp8
	.p2align	8
	.type	check_numerics_fp8,@function
check_numerics_fp8:                     ; @check_numerics_fp8
; %bb.0:
	s_clause 0x1
	s_load_dword s0, s[4:5], 0x20
	s_load_dwordx4 s[8:11], s[4:5], 0x8
	s_add_u32 s1, s4, 32
	s_addc_u32 s3, s5, 0
	v_mov_b32_e32 v1, 0
	v_mov_b32_e32 v5, 8
	v_mov_b32_e32 v6, 0x77
	v_mov_b32_e32 v2, v1
	s_waitcnt lgkmcnt(0)
	s_cmp_lt_u32 s6, s0
	s_cselect_b32 s2, 12, 18
	s_add_u32 s2, s1, s2
	s_addc_u32 s3, s3, 0
	s_mov_b32 s1, exec_lo
	global_load_ushort v7, v1, s[2:3]
	s_waitcnt vmcnt(0)
	v_mad_u64_u32 v[3:4], null, s6, v7, v[0:1]
	v_mov_b32_e32 v4, v1
	s_mov_b32 s6, 0
	v_cmpx_gt_u64_e64 s[8:9], v[3:4]
	s_cbranch_execz .LBB3_90
; %bb.1:
	s_load_dwordx2 s[2:3], s[4:5], 0x0
	v_mul_lo_u32 v7, s0, v7
	v_mov_b32_e32 v8, 0
	v_mov_b32_e32 v5, 8
	;; [unrolled: 1-line block ×5, first 2 shown]
	v_bfrev_b32_e32 v11, 1
	v_mov_b32_e32 v12, 0x80
	v_mov_b32_e32 v13, -1
	v_mov_b32_e32 v1, 0
	v_mov_b32_e32 v2, 0
	s_branch .LBB3_3
.LBB3_2:                                ;   in Loop: Header=BB3_3 Depth=1
	s_or_b32 exec_lo, exec_lo, s0
	v_add_co_u32 v3, vcc_lo, v3, v7
	v_add_co_ci_u32_e64 v4, null, 0, v4, vcc_lo
	v_cmp_gt_f32_e32 vcc_lo, v19, v20
	v_cmp_lt_f32_e64 s0, v17, v18
	v_add_f32_e64 v2, v2, |v16|
	v_add_f32_e32 v1, v1, v15
	v_cndmask_b32_e32 v5, v14, v5, vcc_lo
	v_cmp_le_u64_e32 vcc_lo, s[8:9], v[3:4]
	v_cndmask_b32_e64 v6, v14, v6, s0
	s_or_b32 s6, vcc_lo, s6
	s_andn2_b32 exec_lo, exec_lo, s6
	s_cbranch_execz .LBB3_89
.LBB3_3:                                ; =>This Inner Loop Header: Depth=1
	s_waitcnt lgkmcnt(0)
	v_add_co_u32 v14, vcc_lo, s2, v3
	v_add_co_ci_u32_e64 v15, null, s3, v4, vcc_lo
	global_load_sbyte v14, v[14:15], off
	v_mov_b32_e32 v15, 0
	s_waitcnt vmcnt(0)
	v_cmp_ne_u16_e32 vcc_lo, 0, v14
	s_and_saveexec_b32 s7, vcc_lo
	s_cbranch_execz .LBB3_13
; %bb.4:                                ;   in Loop: Header=BB3_3 Depth=1
	v_bfrev_b32_e32 v15, 1
	s_mov_b32 s12, exec_lo
	v_cmpx_ne_u16_e32 0xff80, v14
	s_cbranch_execz .LBB3_12
; %bb.5:                                ;   in Loop: Header=BB3_3 Depth=1
	v_lshrrev_b16 v15, 3, v14
	v_and_b32_e32 v16, 7, v14
	s_mov_b32 s13, exec_lo
	v_and_b32_e32 v17, 15, v15
                                        ; implicit-def: $vgpr15
	v_cmpx_lt_i32_e32 14, v17
	s_xor_b32 s13, exec_lo, s13
; %bb.6:                                ;   in Loop: Header=BB3_3 Depth=1
	v_cmp_lt_i16_e64 s0, -1, v14
                                        ; implicit-def: $vgpr17
	v_cndmask_b32_e64 v15, 0xff800000, v10, s0
	v_cmp_eq_u32_e64 s0, 0, v16
                                        ; implicit-def: $vgpr16
	v_cndmask_b32_e64 v15, 0x7f800001, v15, s0
; %bb.7:                                ;   in Loop: Header=BB3_3 Depth=1
	s_andn2_saveexec_b32 s13, s13
	s_cbranch_execz .LBB3_11
; %bb.8:                                ;   in Loop: Header=BB3_3 Depth=1
	s_mov_b32 s14, exec_lo
	v_cmpx_eq_u32_e32 0, v17
; %bb.9:                                ;   in Loop: Header=BB3_3 Depth=1
	v_ffbh_u32_e32 v15, v16
	v_subrev_nc_u32_e32 v16, 28, v15
	v_sub_nc_u32_e32 v17, 29, v15
	v_lshlrev_b32_sdwa v16, v16, v14 dst_sel:DWORD dst_unused:UNUSED_PAD src0_sel:DWORD src1_sel:BYTE_0
	v_and_b32_e32 v16, 7, v16
; %bb.10:                               ;   in Loop: Header=BB3_3 Depth=1
	s_or_b32 exec_lo, exec_lo, s14
	v_lshlrev_b32_e32 v15, 20, v16
	v_and_b32_sdwa v16, sext(v14), v11 dst_sel:DWORD dst_unused:UNUSED_PAD src0_sel:WORD_0 src1_sel:DWORD
	v_lshl_add_u32 v17, v17, 23, 0x3c000000
	v_or3_b32 v15, v16, v17, v15
.LBB3_11:                               ;   in Loop: Header=BB3_3 Depth=1
	s_or_b32 exec_lo, exec_lo, s13
.LBB3_12:                               ;   in Loop: Header=BB3_3 Depth=1
	s_or_b32 exec_lo, exec_lo, s12
.LBB3_13:                               ;   in Loop: Header=BB3_3 Depth=1
	s_or_b32 exec_lo, exec_lo, s7
	v_mov_b32_e32 v17, 0
	v_mov_b32_e32 v16, 0
	s_and_saveexec_b32 s7, vcc_lo
	s_cbranch_execz .LBB3_23
; %bb.14:                               ;   in Loop: Header=BB3_3 Depth=1
	v_bfrev_b32_e32 v16, 1
	s_mov_b32 s12, exec_lo
	v_cmpx_ne_u16_e32 0xff80, v14
	s_cbranch_execz .LBB3_22
; %bb.15:                               ;   in Loop: Header=BB3_3 Depth=1
	v_lshrrev_b16 v16, 3, v14
	v_and_b32_e32 v18, 7, v14
	s_mov_b32 s13, exec_lo
	v_and_b32_e32 v19, 15, v16
                                        ; implicit-def: $vgpr16
	v_cmpx_lt_i32_e32 14, v19
	s_xor_b32 s13, exec_lo, s13
; %bb.16:                               ;   in Loop: Header=BB3_3 Depth=1
	v_cmp_lt_i16_e64 s0, -1, v14
                                        ; implicit-def: $vgpr19
	v_cndmask_b32_e64 v16, 0xff800000, v10, s0
	v_cmp_eq_u32_e64 s0, 0, v18
                                        ; implicit-def: $vgpr18
	v_cndmask_b32_e64 v16, 0x7f800001, v16, s0
; %bb.17:                               ;   in Loop: Header=BB3_3 Depth=1
	s_andn2_saveexec_b32 s13, s13
	s_cbranch_execz .LBB3_21
; %bb.18:                               ;   in Loop: Header=BB3_3 Depth=1
	s_mov_b32 s14, exec_lo
	v_cmpx_eq_u32_e32 0, v19
; %bb.19:                               ;   in Loop: Header=BB3_3 Depth=1
	v_ffbh_u32_e32 v16, v18
	v_subrev_nc_u32_e32 v18, 28, v16
	v_sub_nc_u32_e32 v19, 29, v16
	v_lshlrev_b32_sdwa v18, v18, v14 dst_sel:DWORD dst_unused:UNUSED_PAD src0_sel:DWORD src1_sel:BYTE_0
	v_and_b32_e32 v18, 7, v18
; %bb.20:                               ;   in Loop: Header=BB3_3 Depth=1
	s_or_b32 exec_lo, exec_lo, s14
	v_lshlrev_b32_e32 v16, 20, v18
	v_and_b32_sdwa v18, sext(v14), v11 dst_sel:DWORD dst_unused:UNUSED_PAD src0_sel:WORD_0 src1_sel:DWORD
	v_lshl_add_u32 v19, v19, 23, 0x3c000000
	v_or3_b32 v16, v18, v19, v16
.LBB3_21:                               ;   in Loop: Header=BB3_3 Depth=1
	s_or_b32 exec_lo, exec_lo, s13
.LBB3_22:                               ;   in Loop: Header=BB3_3 Depth=1
	s_or_b32 exec_lo, exec_lo, s12
.LBB3_23:                               ;   in Loop: Header=BB3_3 Depth=1
	s_or_b32 exec_lo, exec_lo, s7
	v_cmp_ne_u16_sdwa s0, v6, v8 src0_sel:BYTE_0 src1_sel:DWORD
	s_and_saveexec_b32 s7, s0
	s_cbranch_execz .LBB3_33
; %bb.24:                               ;   in Loop: Header=BB3_3 Depth=1
	v_cmp_ne_u16_sdwa s0, v6, v12 src0_sel:BYTE_0 src1_sel:DWORD
	v_bfrev_b32_e32 v17, 1
	s_and_saveexec_b32 s12, s0
	s_cbranch_execz .LBB3_32
; %bb.25:                               ;   in Loop: Header=BB3_3 Depth=1
	v_lshrrev_b16 v17, 3, v6
	v_and_b32_e32 v18, 7, v6
	s_mov_b32 s13, exec_lo
	v_and_b32_e32 v19, 15, v17
                                        ; implicit-def: $vgpr17
	v_cmpx_lt_i32_e32 14, v19
	s_xor_b32 s13, exec_lo, s13
; %bb.26:                               ;   in Loop: Header=BB3_3 Depth=1
	v_cmp_gt_i16_sdwa s0, sext(v6), v13 src0_sel:BYTE_0 src1_sel:DWORD
                                        ; implicit-def: $vgpr19
	v_cndmask_b32_e64 v17, 0xff800000, v10, s0
	v_cmp_eq_u32_e64 s0, 0, v18
                                        ; implicit-def: $vgpr18
	v_cndmask_b32_e64 v17, 0x7f800001, v17, s0
; %bb.27:                               ;   in Loop: Header=BB3_3 Depth=1
	s_andn2_saveexec_b32 s13, s13
	s_cbranch_execz .LBB3_31
; %bb.28:                               ;   in Loop: Header=BB3_3 Depth=1
	s_mov_b32 s14, exec_lo
	v_cmpx_eq_u32_e32 0, v19
; %bb.29:                               ;   in Loop: Header=BB3_3 Depth=1
	v_ffbh_u32_e32 v17, v18
	v_subrev_nc_u32_e32 v18, 28, v17
	v_sub_nc_u32_e32 v19, 29, v17
	v_lshlrev_b32_sdwa v18, v18, v6 dst_sel:DWORD dst_unused:UNUSED_PAD src0_sel:DWORD src1_sel:BYTE_0
	v_and_b32_e32 v18, 7, v18
; %bb.30:                               ;   in Loop: Header=BB3_3 Depth=1
	s_or_b32 exec_lo, exec_lo, s14
	v_lshlrev_b32_e32 v17, 24, v6
	v_lshlrev_b32_e32 v18, 20, v18
	v_lshl_add_u32 v19, v19, 23, 0x3c000000
	v_and_b32_e32 v17, 0x80000000, v17
	v_or3_b32 v17, v17, v19, v18
.LBB3_31:                               ;   in Loop: Header=BB3_3 Depth=1
	s_or_b32 exec_lo, exec_lo, s13
.LBB3_32:                               ;   in Loop: Header=BB3_3 Depth=1
	s_or_b32 exec_lo, exec_lo, s12
.LBB3_33:                               ;   in Loop: Header=BB3_3 Depth=1
	s_or_b32 exec_lo, exec_lo, s7
	v_mov_b32_e32 v19, 0
	v_mov_b32_e32 v18, 0
	s_and_saveexec_b32 s7, vcc_lo
	s_cbranch_execnz .LBB3_36
; %bb.34:                               ;   in Loop: Header=BB3_3 Depth=1
	s_or_b32 exec_lo, exec_lo, s7
	v_cmp_ne_u16_sdwa s0, v5, v8 src0_sel:BYTE_0 src1_sel:DWORD
	s_and_saveexec_b32 s7, s0
	s_cbranch_execnz .LBB3_45
.LBB3_35:                               ;   in Loop: Header=BB3_3 Depth=1
	s_or_b32 exec_lo, exec_lo, s7
	v_mov_b32_e32 v20, 0
	s_and_saveexec_b32 s7, vcc_lo
	s_cbranch_execnz .LBB3_54
	s_branch .LBB3_63
.LBB3_36:                               ;   in Loop: Header=BB3_3 Depth=1
	v_bfrev_b32_e32 v18, 1
	s_mov_b32 s12, exec_lo
	v_cmpx_ne_u16_e32 0xff80, v14
	s_cbranch_execz .LBB3_44
; %bb.37:                               ;   in Loop: Header=BB3_3 Depth=1
	v_lshrrev_b16 v18, 3, v14
	v_and_b32_e32 v20, 7, v14
	s_mov_b32 s13, exec_lo
	v_and_b32_e32 v21, 15, v18
                                        ; implicit-def: $vgpr18
	v_cmpx_lt_i32_e32 14, v21
	s_xor_b32 s13, exec_lo, s13
; %bb.38:                               ;   in Loop: Header=BB3_3 Depth=1
	v_cmp_lt_i16_e64 s0, -1, v14
                                        ; implicit-def: $vgpr21
	v_cndmask_b32_e64 v18, 0xff800000, v10, s0
	v_cmp_eq_u32_e64 s0, 0, v20
                                        ; implicit-def: $vgpr20
	v_cndmask_b32_e64 v18, 0x7f800001, v18, s0
; %bb.39:                               ;   in Loop: Header=BB3_3 Depth=1
	s_andn2_saveexec_b32 s13, s13
	s_cbranch_execz .LBB3_43
; %bb.40:                               ;   in Loop: Header=BB3_3 Depth=1
	s_mov_b32 s14, exec_lo
	v_cmpx_eq_u32_e32 0, v21
; %bb.41:                               ;   in Loop: Header=BB3_3 Depth=1
	v_ffbh_u32_e32 v18, v20
	v_subrev_nc_u32_e32 v20, 28, v18
	v_sub_nc_u32_e32 v21, 29, v18
	v_lshlrev_b32_sdwa v20, v20, v14 dst_sel:DWORD dst_unused:UNUSED_PAD src0_sel:DWORD src1_sel:BYTE_0
	v_and_b32_e32 v20, 7, v20
; %bb.42:                               ;   in Loop: Header=BB3_3 Depth=1
	s_or_b32 exec_lo, exec_lo, s14
	v_lshlrev_b32_e32 v18, 20, v20
	v_and_b32_sdwa v20, sext(v14), v11 dst_sel:DWORD dst_unused:UNUSED_PAD src0_sel:WORD_0 src1_sel:DWORD
	v_lshl_add_u32 v21, v21, 23, 0x3c000000
	v_or3_b32 v18, v20, v21, v18
.LBB3_43:                               ;   in Loop: Header=BB3_3 Depth=1
	s_or_b32 exec_lo, exec_lo, s13
.LBB3_44:                               ;   in Loop: Header=BB3_3 Depth=1
	s_or_b32 exec_lo, exec_lo, s12
	s_or_b32 exec_lo, exec_lo, s7
	v_cmp_ne_u16_sdwa s0, v5, v8 src0_sel:BYTE_0 src1_sel:DWORD
	s_and_saveexec_b32 s7, s0
	s_cbranch_execz .LBB3_35
.LBB3_45:                               ;   in Loop: Header=BB3_3 Depth=1
	v_cmp_ne_u16_sdwa s0, v5, v12 src0_sel:BYTE_0 src1_sel:DWORD
	v_bfrev_b32_e32 v19, 1
	s_and_saveexec_b32 s12, s0
	s_cbranch_execz .LBB3_53
; %bb.46:                               ;   in Loop: Header=BB3_3 Depth=1
	v_lshrrev_b16 v19, 3, v5
	v_and_b32_e32 v20, 7, v5
	s_mov_b32 s13, exec_lo
	v_and_b32_e32 v21, 15, v19
                                        ; implicit-def: $vgpr19
	v_cmpx_lt_i32_e32 14, v21
	s_xor_b32 s13, exec_lo, s13
; %bb.47:                               ;   in Loop: Header=BB3_3 Depth=1
	v_cmp_gt_i16_sdwa s0, sext(v5), v13 src0_sel:BYTE_0 src1_sel:DWORD
                                        ; implicit-def: $vgpr21
	v_cndmask_b32_e64 v19, 0xff800000, v10, s0
	v_cmp_eq_u32_e64 s0, 0, v20
                                        ; implicit-def: $vgpr20
	v_cndmask_b32_e64 v19, 0x7f800001, v19, s0
; %bb.48:                               ;   in Loop: Header=BB3_3 Depth=1
	s_andn2_saveexec_b32 s13, s13
	s_cbranch_execz .LBB3_52
; %bb.49:                               ;   in Loop: Header=BB3_3 Depth=1
	s_mov_b32 s14, exec_lo
	v_cmpx_eq_u32_e32 0, v21
; %bb.50:                               ;   in Loop: Header=BB3_3 Depth=1
	v_ffbh_u32_e32 v19, v20
	v_subrev_nc_u32_e32 v20, 28, v19
	v_sub_nc_u32_e32 v21, 29, v19
	v_lshlrev_b32_sdwa v20, v20, v5 dst_sel:DWORD dst_unused:UNUSED_PAD src0_sel:DWORD src1_sel:BYTE_0
	v_and_b32_e32 v20, 7, v20
; %bb.51:                               ;   in Loop: Header=BB3_3 Depth=1
	s_or_b32 exec_lo, exec_lo, s14
	v_lshlrev_b32_e32 v19, 24, v5
	v_lshlrev_b32_e32 v20, 20, v20
	v_lshl_add_u32 v21, v21, 23, 0x3c000000
	v_and_b32_e32 v19, 0x80000000, v19
	v_or3_b32 v19, v19, v21, v20
.LBB3_52:                               ;   in Loop: Header=BB3_3 Depth=1
	s_or_b32 exec_lo, exec_lo, s13
.LBB3_53:                               ;   in Loop: Header=BB3_3 Depth=1
	s_or_b32 exec_lo, exec_lo, s12
	s_or_b32 exec_lo, exec_lo, s7
	v_mov_b32_e32 v20, 0
	s_and_saveexec_b32 s7, vcc_lo
	s_cbranch_execz .LBB3_63
.LBB3_54:                               ;   in Loop: Header=BB3_3 Depth=1
	v_bfrev_b32_e32 v20, 1
	s_mov_b32 s12, exec_lo
	v_cmpx_ne_u16_e32 0xff80, v14
	s_cbranch_execz .LBB3_62
; %bb.55:                               ;   in Loop: Header=BB3_3 Depth=1
	v_lshrrev_b16 v20, 3, v14
	v_and_b32_e32 v21, 7, v14
	s_mov_b32 s13, exec_lo
	v_and_b32_e32 v22, 15, v20
                                        ; implicit-def: $vgpr20
	v_cmpx_lt_i32_e32 14, v22
	s_xor_b32 s13, exec_lo, s13
; %bb.56:                               ;   in Loop: Header=BB3_3 Depth=1
	v_cmp_lt_i16_e64 s0, -1, v14
                                        ; implicit-def: $vgpr22
	v_cndmask_b32_e64 v20, 0xff800000, v10, s0
	v_cmp_eq_u32_e64 s0, 0, v21
                                        ; implicit-def: $vgpr21
	v_cndmask_b32_e64 v20, 0x7f800001, v20, s0
; %bb.57:                               ;   in Loop: Header=BB3_3 Depth=1
	s_andn2_saveexec_b32 s13, s13
	s_cbranch_execz .LBB3_61
; %bb.58:                               ;   in Loop: Header=BB3_3 Depth=1
	s_mov_b32 s14, exec_lo
	v_cmpx_eq_u32_e32 0, v22
; %bb.59:                               ;   in Loop: Header=BB3_3 Depth=1
	v_ffbh_u32_e32 v20, v21
	v_subrev_nc_u32_e32 v21, 28, v20
	v_sub_nc_u32_e32 v22, 29, v20
	v_lshlrev_b32_sdwa v21, v21, v14 dst_sel:DWORD dst_unused:UNUSED_PAD src0_sel:DWORD src1_sel:BYTE_0
	v_and_b32_e32 v21, 7, v21
; %bb.60:                               ;   in Loop: Header=BB3_3 Depth=1
	s_or_b32 exec_lo, exec_lo, s14
	v_lshlrev_b32_e32 v20, 20, v21
	v_and_b32_sdwa v21, sext(v14), v11 dst_sel:DWORD dst_unused:UNUSED_PAD src0_sel:WORD_0 src1_sel:DWORD
	v_lshl_add_u32 v22, v22, 23, 0x3c000000
	v_or3_b32 v20, v21, v22, v20
.LBB3_61:                               ;   in Loop: Header=BB3_3 Depth=1
	s_or_b32 exec_lo, exec_lo, s13
.LBB3_62:                               ;   in Loop: Header=BB3_3 Depth=1
	s_or_b32 exec_lo, exec_lo, s12
.LBB3_63:                               ;   in Loop: Header=BB3_3 Depth=1
	s_or_b32 exec_lo, exec_lo, s7
	s_mov_b32 s7, exec_lo
	v_cmpx_eq_f32_e32 0, v16
	s_cbranch_execz .LBB3_65
; %bb.64:                               ;   in Loop: Header=BB3_3 Depth=1
	global_store_dword v8, v9, s[10:11] offset:16
.LBB3_65:                               ;   in Loop: Header=BB3_3 Depth=1
	s_or_b32 exec_lo, exec_lo, s7
	v_mov_b32_e32 v21, 0
	s_and_saveexec_b32 s7, vcc_lo
	s_cbranch_execz .LBB3_75
; %bb.66:                               ;   in Loop: Header=BB3_3 Depth=1
	v_bfrev_b32_e32 v21, 1
	s_mov_b32 s12, exec_lo
	v_cmpx_ne_u16_e32 0xff80, v14
	s_cbranch_execz .LBB3_74
; %bb.67:                               ;   in Loop: Header=BB3_3 Depth=1
	v_lshrrev_b16 v21, 3, v14
	v_and_b32_e32 v22, 7, v14
	s_mov_b32 s13, exec_lo
	v_and_b32_e32 v23, 15, v21
                                        ; implicit-def: $vgpr21
	v_cmpx_lt_i32_e32 14, v23
	s_xor_b32 s13, exec_lo, s13
; %bb.68:                               ;   in Loop: Header=BB3_3 Depth=1
	v_cmp_lt_i16_e64 s0, -1, v14
                                        ; implicit-def: $vgpr23
	v_cndmask_b32_e64 v21, 0xff800000, v10, s0
	v_cmp_eq_u32_e64 s0, 0, v22
                                        ; implicit-def: $vgpr22
	v_cndmask_b32_e64 v21, 0x7f800001, v21, s0
; %bb.69:                               ;   in Loop: Header=BB3_3 Depth=1
	s_andn2_saveexec_b32 s13, s13
	s_cbranch_execz .LBB3_73
; %bb.70:                               ;   in Loop: Header=BB3_3 Depth=1
	s_mov_b32 s14, exec_lo
	v_cmpx_eq_u32_e32 0, v23
; %bb.71:                               ;   in Loop: Header=BB3_3 Depth=1
	v_ffbh_u32_e32 v21, v22
	v_subrev_nc_u32_e32 v22, 28, v21
	v_sub_nc_u32_e32 v23, 29, v21
	v_lshlrev_b32_sdwa v22, v22, v14 dst_sel:DWORD dst_unused:UNUSED_PAD src0_sel:DWORD src1_sel:BYTE_0
	v_and_b32_e32 v22, 7, v22
; %bb.72:                               ;   in Loop: Header=BB3_3 Depth=1
	s_or_b32 exec_lo, exec_lo, s14
	v_lshlrev_b32_e32 v21, 20, v22
	v_and_b32_sdwa v22, sext(v14), v11 dst_sel:DWORD dst_unused:UNUSED_PAD src0_sel:WORD_0 src1_sel:DWORD
	v_lshl_add_u32 v23, v23, 23, 0x3c000000
	v_or3_b32 v21, v22, v23, v21
.LBB3_73:                               ;   in Loop: Header=BB3_3 Depth=1
	s_or_b32 exec_lo, exec_lo, s13
.LBB3_74:                               ;   in Loop: Header=BB3_3 Depth=1
	s_or_b32 exec_lo, exec_lo, s12
.LBB3_75:                               ;   in Loop: Header=BB3_3 Depth=1
	s_or_b32 exec_lo, exec_lo, s7
	s_mov_b32 s7, exec_lo
	v_cmpx_u_f32_e32 v21, v21
	s_cbranch_execnz .LBB3_78
; %bb.76:                               ;   in Loop: Header=BB3_3 Depth=1
	s_or_b32 exec_lo, exec_lo, s7
	v_mov_b32_e32 v21, 0
	s_and_saveexec_b32 s0, vcc_lo
	s_cbranch_execnz .LBB3_79
.LBB3_77:                               ;   in Loop: Header=BB3_3 Depth=1
	s_or_b32 exec_lo, exec_lo, s0
	v_cmp_class_f32_e64 s7, v21, 0x204
	s_and_saveexec_b32 s0, s7
	s_cbranch_execz .LBB3_2
	s_branch .LBB3_88
.LBB3_78:                               ;   in Loop: Header=BB3_3 Depth=1
	global_store_dword v8, v9, s[10:11] offset:20
	s_or_b32 exec_lo, exec_lo, s7
	v_mov_b32_e32 v21, 0
	s_and_saveexec_b32 s0, vcc_lo
	s_cbranch_execz .LBB3_77
.LBB3_79:                               ;   in Loop: Header=BB3_3 Depth=1
	v_bfrev_b32_e32 v21, 1
	s_mov_b32 s7, exec_lo
	v_cmpx_ne_u16_e32 0xff80, v14
	s_cbranch_execz .LBB3_87
; %bb.80:                               ;   in Loop: Header=BB3_3 Depth=1
	v_lshrrev_b16 v21, 3, v14
	v_and_b32_e32 v22, 7, v14
	s_mov_b32 s12, exec_lo
	v_and_b32_e32 v23, 15, v21
                                        ; implicit-def: $vgpr21
	v_cmpx_lt_i32_e32 14, v23
	s_xor_b32 s12, exec_lo, s12
; %bb.81:                               ;   in Loop: Header=BB3_3 Depth=1
	v_cmp_lt_i16_e32 vcc_lo, -1, v14
                                        ; implicit-def: $vgpr23
	v_cndmask_b32_e32 v21, 0xff800000, v10, vcc_lo
	v_cmp_eq_u32_e32 vcc_lo, 0, v22
                                        ; implicit-def: $vgpr22
	v_cndmask_b32_e32 v21, 0x7f800001, v21, vcc_lo
; %bb.82:                               ;   in Loop: Header=BB3_3 Depth=1
	s_andn2_saveexec_b32 s12, s12
	s_cbranch_execz .LBB3_86
; %bb.83:                               ;   in Loop: Header=BB3_3 Depth=1
	s_mov_b32 s13, exec_lo
	v_cmpx_eq_u32_e32 0, v23
; %bb.84:                               ;   in Loop: Header=BB3_3 Depth=1
	v_ffbh_u32_e32 v21, v22
	v_subrev_nc_u32_e32 v22, 28, v21
	v_sub_nc_u32_e32 v23, 29, v21
	v_lshlrev_b32_sdwa v22, v22, v14 dst_sel:DWORD dst_unused:UNUSED_PAD src0_sel:DWORD src1_sel:BYTE_0
	v_and_b32_e32 v22, 7, v22
; %bb.85:                               ;   in Loop: Header=BB3_3 Depth=1
	s_or_b32 exec_lo, exec_lo, s13
	v_lshlrev_b32_e32 v21, 20, v22
	v_and_b32_sdwa v22, sext(v14), v11 dst_sel:DWORD dst_unused:UNUSED_PAD src0_sel:WORD_0 src1_sel:DWORD
	v_lshl_add_u32 v23, v23, 23, 0x3c000000
	v_or3_b32 v21, v22, v23, v21
.LBB3_86:                               ;   in Loop: Header=BB3_3 Depth=1
	s_or_b32 exec_lo, exec_lo, s12
.LBB3_87:                               ;   in Loop: Header=BB3_3 Depth=1
	s_or_b32 exec_lo, exec_lo, s7
	s_or_b32 exec_lo, exec_lo, s0
	v_cmp_class_f32_e64 s7, v21, 0x204
	s_and_saveexec_b32 s0, s7
	s_cbranch_execz .LBB3_2
.LBB3_88:                               ;   in Loop: Header=BB3_3 Depth=1
	global_store_dword v8, v9, s[10:11] offset:24
	s_branch .LBB3_2
.LBB3_89:
	s_or_b32 exec_lo, exec_lo, s6
.LBB3_90:
	s_or_b32 exec_lo, exec_lo, s1
	s_load_dword s0, s[4:5], 0x18
	s_waitcnt lgkmcnt(0)
	s_bitcmp1_b32 s0, 0
	s_cselect_b32 s0, -1, 0
	s_and_b32 vcc_lo, exec_lo, s0
	s_cbranch_vccz .LBB3_140
; %bb.91:
	v_mov_b32_e32 v4, 0
	v_lshlrev_b32_e32 v3, 4, v0
	v_mov_b32_e32 v7, 0
	v_cmp_ne_u16_sdwa s1, v6, v4 src0_sel:BYTE_0 src1_sel:DWORD
	ds_write_b64 v3, v[1:2]
	s_and_saveexec_b32 s0, s1
	s_cbranch_execz .LBB3_101
; %bb.92:
	v_mov_b32_e32 v1, 0x80
	v_bfrev_b32_e32 v7, 1
	v_cmp_ne_u16_sdwa s2, v6, v1 src0_sel:BYTE_0 src1_sel:DWORD
	s_and_saveexec_b32 s1, s2
	s_cbranch_execz .LBB3_100
; %bb.93:
	v_lshrrev_b16 v1, 3, v6
	s_mov_b32 s2, exec_lo
                                        ; implicit-def: $vgpr7
	v_and_b32_e32 v2, 15, v1
	v_and_b32_e32 v1, 7, v6
	v_cmpx_lt_i32_e32 14, v2
	s_xor_b32 s2, exec_lo, s2
; %bb.94:
	v_mov_b32_e32 v2, -1
	v_mov_b32_e32 v7, 0x7f800000
	v_cmp_gt_i16_sdwa vcc_lo, sext(v6), v2 src0_sel:BYTE_0 src1_sel:DWORD
                                        ; implicit-def: $vgpr6
	v_cndmask_b32_e32 v2, 0xff800000, v7, vcc_lo
	v_cmp_eq_u32_e32 vcc_lo, 0, v1
                                        ; implicit-def: $vgpr1
	v_cndmask_b32_e32 v7, 0x7f800001, v2, vcc_lo
                                        ; implicit-def: $vgpr2
; %bb.95:
	s_andn2_saveexec_b32 s2, s2
	s_cbranch_execz .LBB3_99
; %bb.96:
	s_mov_b32 s3, exec_lo
	v_cmpx_eq_u32_e32 0, v2
; %bb.97:
	v_ffbh_u32_e32 v1, v1
	v_subrev_nc_u32_e32 v2, 28, v1
	v_lshlrev_b32_sdwa v7, v2, v6 dst_sel:DWORD dst_unused:UNUSED_PAD src0_sel:DWORD src1_sel:BYTE_0
	v_sub_nc_u32_e32 v2, 29, v1
	v_and_b32_e32 v1, 7, v7
; %bb.98:
	s_or_b32 exec_lo, exec_lo, s3
	v_lshlrev_b32_e32 v6, 24, v6
	v_lshlrev_b32_e32 v1, 20, v1
	v_lshl_add_u32 v2, v2, 23, 0x3c000000
	v_and_b32_e32 v6, 0x80000000, v6
	v_or3_b32 v7, v6, v2, v1
.LBB3_99:
	s_or_b32 exec_lo, exec_lo, s2
.LBB3_100:
	s_or_b32 exec_lo, exec_lo, s1
.LBB3_101:
	s_or_b32 exec_lo, exec_lo, s0
	v_cmp_ne_u16_sdwa s1, v5, v4 src0_sel:BYTE_0 src1_sel:DWORD
	ds_write_b32 v3, v7 offset:8
	s_and_saveexec_b32 s0, s1
	s_cbranch_execz .LBB3_111
; %bb.102:
	v_mov_b32_e32 v1, 0x80
	v_bfrev_b32_e32 v4, 1
	v_cmp_ne_u16_sdwa s2, v5, v1 src0_sel:BYTE_0 src1_sel:DWORD
	s_and_saveexec_b32 s1, s2
	s_cbranch_execz .LBB3_110
; %bb.103:
	v_lshrrev_b16 v1, 3, v5
	s_mov_b32 s2, exec_lo
                                        ; implicit-def: $vgpr4
	v_and_b32_e32 v2, 15, v1
	v_and_b32_e32 v1, 7, v5
	v_cmpx_lt_i32_e32 14, v2
	s_xor_b32 s2, exec_lo, s2
; %bb.104:
	v_mov_b32_e32 v2, -1
	v_mov_b32_e32 v4, 0x7f800000
	v_cmp_gt_i16_sdwa vcc_lo, sext(v5), v2 src0_sel:BYTE_0 src1_sel:DWORD
                                        ; implicit-def: $vgpr5
	v_cndmask_b32_e32 v2, 0xff800000, v4, vcc_lo
	v_cmp_eq_u32_e32 vcc_lo, 0, v1
                                        ; implicit-def: $vgpr1
	v_cndmask_b32_e32 v4, 0x7f800001, v2, vcc_lo
                                        ; implicit-def: $vgpr2
; %bb.105:
	s_andn2_saveexec_b32 s2, s2
	s_cbranch_execz .LBB3_109
; %bb.106:
	s_mov_b32 s3, exec_lo
	v_cmpx_eq_u32_e32 0, v2
; %bb.107:
	v_ffbh_u32_e32 v1, v1
	v_subrev_nc_u32_e32 v2, 28, v1
	v_lshlrev_b32_sdwa v4, v2, v5 dst_sel:DWORD dst_unused:UNUSED_PAD src0_sel:DWORD src1_sel:BYTE_0
	v_sub_nc_u32_e32 v2, 29, v1
	v_and_b32_e32 v1, 7, v4
; %bb.108:
	s_or_b32 exec_lo, exec_lo, s3
	v_lshlrev_b32_e32 v4, 24, v5
	v_lshlrev_b32_e32 v1, 20, v1
	v_lshl_add_u32 v2, v2, 23, 0x3c000000
	v_and_b32_e32 v4, 0x80000000, v4
	v_or3_b32 v4, v4, v2, v1
.LBB3_109:
	s_or_b32 exec_lo, exec_lo, s2
.LBB3_110:
	s_or_b32 exec_lo, exec_lo, s1
.LBB3_111:
	s_or_b32 exec_lo, exec_lo, s0
	s_mov_b32 s0, exec_lo
	ds_write_b32 v3, v4 offset:12
	s_waitcnt lgkmcnt(0)
	s_waitcnt_vscnt null, 0x0
	s_barrier
	buffer_gl0_inv
	v_cmpx_gt_u32_e32 0x80, v0
	s_cbranch_execz .LBB3_113
; %bb.112:
	ds_read_b128 v[4:7], v3 offset:2048
	ds_read_b128 v[8:11], v3
	s_waitcnt lgkmcnt(1)
	v_max_f32_e32 v1, v6, v6
	s_waitcnt lgkmcnt(0)
	v_max_f32_e32 v2, v10, v10
	v_max_f32_e32 v7, v7, v7
	v_max_f32_e32 v10, v11, v11
	v_add_f32_e32 v4, v4, v8
	v_add_f32_e32 v5, v5, v9
	v_min_f32_e32 v6, v2, v1
	v_max_f32_e32 v7, v10, v7
	ds_write_b128 v3, v[4:7]
.LBB3_113:
	s_or_b32 exec_lo, exec_lo, s0
	s_mov_b32 s0, exec_lo
	s_waitcnt lgkmcnt(0)
	s_barrier
	buffer_gl0_inv
	v_cmpx_gt_u32_e32 64, v0
	s_cbranch_execz .LBB3_115
; %bb.114:
	ds_read_b128 v[4:7], v3 offset:1024
	ds_read_b128 v[8:11], v3
	s_waitcnt lgkmcnt(1)
	v_max_f32_e32 v1, v6, v6
	s_waitcnt lgkmcnt(0)
	v_max_f32_e32 v2, v10, v10
	v_max_f32_e32 v7, v7, v7
	v_max_f32_e32 v10, v11, v11
	v_add_f32_e32 v4, v4, v8
	v_add_f32_e32 v5, v5, v9
	v_min_f32_e32 v6, v2, v1
	v_max_f32_e32 v7, v10, v7
	ds_write_b128 v3, v[4:7]
.LBB3_115:
	s_or_b32 exec_lo, exec_lo, s0
	s_mov_b32 s0, exec_lo
	s_waitcnt lgkmcnt(0)
	;; [unrolled: 22-line block ×6, first 2 shown]
	s_barrier
	buffer_gl0_inv
	v_cmpx_gt_u32_e32 2, v0
	s_cbranch_execz .LBB3_125
; %bb.124:
	ds_read_b128 v[4:7], v3 offset:32
	ds_read_b128 v[8:11], v3
	s_waitcnt lgkmcnt(1)
	v_max_f32_e32 v1, v6, v6
	s_waitcnt lgkmcnt(0)
	v_max_f32_e32 v2, v10, v10
	v_max_f32_e32 v7, v7, v7
	;; [unrolled: 1-line block ×3, first 2 shown]
	v_add_f32_e32 v4, v4, v8
	v_add_f32_e32 v5, v5, v9
	v_min_f32_e32 v6, v2, v1
	v_max_f32_e32 v7, v10, v7
	ds_write_b128 v3, v[4:7]
.LBB3_125:
	s_or_b32 exec_lo, exec_lo, s0
	v_cmp_eq_u32_e32 vcc_lo, 0, v0
	s_waitcnt lgkmcnt(0)
	s_barrier
	buffer_gl0_inv
	s_and_saveexec_b32 s0, vcc_lo
	s_cbranch_execz .LBB3_127
; %bb.126:
	ds_read_b128 v[4:7], v3 offset:16
	ds_read_b128 v[8:11], v3
	s_waitcnt lgkmcnt(1)
	v_max_f32_e32 v0, v6, v6
	s_waitcnt lgkmcnt(0)
	v_max_f32_e32 v1, v10, v10
	v_max_f32_e32 v2, v7, v7
	;; [unrolled: 1-line block ×3, first 2 shown]
	v_add_f32_e32 v4, v4, v8
	v_add_f32_e32 v5, v5, v9
	v_min_f32_e32 v6, v1, v0
	v_max_f32_e32 v7, v7, v2
	ds_write_b128 v3, v[4:7]
.LBB3_127:
	s_or_b32 exec_lo, exec_lo, s0
	s_waitcnt lgkmcnt(0)
	s_barrier
	buffer_gl0_inv
	s_and_saveexec_b32 s0, vcc_lo
	s_cbranch_execz .LBB3_140
; %bb.128:
	s_mov_b32 s2, exec_lo
	s_mov_b32 s1, 0
	v_mbcnt_lo_u32_b32 v0, s2, 0
	s_mov_b32 s0, exec_lo
	v_cmpx_eq_u32_e32 0, v0
	s_cbranch_execz .LBB3_131
; %bb.129:
	v_mov_b32_e32 v2, 0
	s_load_dword s3, s[10:11], 0x0
	s_bcnt1_i32_b32 s2, s2
	v_cvt_f32_ubyte0_e32 v1, s2
	ds_read_b32 v0, v2
	s_waitcnt lgkmcnt(0)
	v_mul_f32_e32 v3, v0, v1
	v_mov_b32_e32 v1, s3
.LBB3_130:                              ; =>This Inner Loop Header: Depth=1
	v_add_f32_e32 v0, v1, v3
	global_atomic_cmpswap v0, v2, v[0:1], s[10:11] glc
	s_waitcnt vmcnt(0)
	v_cmp_eq_u32_e32 vcc_lo, v0, v1
	v_mov_b32_e32 v1, v0
	s_or_b32 s1, vcc_lo, s1
	s_andn2_b32 exec_lo, exec_lo, s1
	s_cbranch_execnz .LBB3_130
.LBB3_131:
	s_or_b32 exec_lo, exec_lo, s0
	s_mov_b32 s2, exec_lo
	s_mov_b32 s1, 0
	v_mbcnt_lo_u32_b32 v0, s2, 0
	s_mov_b32 s0, exec_lo
	v_cmpx_eq_u32_e32 0, v0
	s_cbranch_execz .LBB3_134
; %bb.132:
	v_mov_b32_e32 v2, 0
	s_load_dword s3, s[10:11], 0x4
	s_bcnt1_i32_b32 s2, s2
	v_cvt_f32_ubyte0_e32 v1, s2
	ds_read_b32 v0, v2 offset:4
	s_waitcnt lgkmcnt(0)
	v_mul_f32_e32 v3, v0, v1
	v_mov_b32_e32 v1, s3
.LBB3_133:                              ; =>This Inner Loop Header: Depth=1
	v_add_f32_e32 v0, v1, v3
	global_atomic_cmpswap v0, v2, v[0:1], s[10:11] offset:4 glc
	s_waitcnt vmcnt(0)
	v_cmp_eq_u32_e32 vcc_lo, v0, v1
	v_mov_b32_e32 v1, v0
	s_or_b32 s1, vcc_lo, s1
	s_andn2_b32 exec_lo, exec_lo, s1
	s_cbranch_execnz .LBB3_133
.LBB3_134:
	s_or_b32 exec_lo, exec_lo, s0
	v_mbcnt_lo_u32_b32 v0, exec_lo, 0
	s_mov_b32 s1, 0
	s_mov_b32 s0, exec_lo
	v_cmpx_eq_u32_e32 0, v0
	s_cbranch_execz .LBB3_137
; %bb.135:
	v_mov_b32_e32 v2, 0
	s_load_dword s2, s[10:11], 0x8
	ds_read_b32 v0, v2 offset:8
	s_waitcnt lgkmcnt(0)
	v_mov_b32_e32 v1, s2
	v_max_f32_e32 v3, v0, v0
.LBB3_136:                              ; =>This Inner Loop Header: Depth=1
	v_max_f32_e32 v0, v1, v1
	v_min_f32_e32 v0, v0, v3
	global_atomic_cmpswap v0, v2, v[0:1], s[10:11] offset:8 glc
	s_waitcnt vmcnt(0)
	v_cmp_eq_u32_e32 vcc_lo, v0, v1
	v_mov_b32_e32 v1, v0
	s_or_b32 s1, vcc_lo, s1
	s_andn2_b32 exec_lo, exec_lo, s1
	s_cbranch_execnz .LBB3_136
.LBB3_137:
	s_or_b32 exec_lo, exec_lo, s0
	v_mbcnt_lo_u32_b32 v0, exec_lo, 0
	s_mov_b32 s0, 0
	v_cmp_eq_u32_e32 vcc_lo, 0, v0
	s_and_b32 exec_lo, exec_lo, vcc_lo
	s_cbranch_execz .LBB3_140
; %bb.138:
	v_mov_b32_e32 v2, 0
	s_load_dword s1, s[10:11], 0xc
	ds_read_b32 v0, v2 offset:12
	s_waitcnt lgkmcnt(0)
	v_mov_b32_e32 v1, s1
	v_max_f32_e32 v3, v0, v0
.LBB3_139:                              ; =>This Inner Loop Header: Depth=1
	v_max_f32_e32 v0, v1, v1
	v_max_f32_e32 v0, v0, v3
	global_atomic_cmpswap v0, v2, v[0:1], s[10:11] offset:12 glc
	s_waitcnt vmcnt(0)
	v_cmp_eq_u32_e32 vcc_lo, v0, v1
	v_mov_b32_e32 v1, v0
	s_or_b32 s0, vcc_lo, s0
	s_andn2_b32 exec_lo, exec_lo, s0
	s_cbranch_execnz .LBB3_139
.LBB3_140:
	s_endpgm
	.section	.rodata,"a",@progbits
	.p2align	6, 0x0
	.amdhsa_kernel check_numerics_fp8
		.amdhsa_group_segment_fixed_size 4096
		.amdhsa_private_segment_fixed_size 0
		.amdhsa_kernarg_size 288
		.amdhsa_user_sgpr_count 6
		.amdhsa_user_sgpr_private_segment_buffer 1
		.amdhsa_user_sgpr_dispatch_ptr 0
		.amdhsa_user_sgpr_queue_ptr 0
		.amdhsa_user_sgpr_kernarg_segment_ptr 1
		.amdhsa_user_sgpr_dispatch_id 0
		.amdhsa_user_sgpr_flat_scratch_init 0
		.amdhsa_user_sgpr_private_segment_size 0
		.amdhsa_wavefront_size32 1
		.amdhsa_uses_dynamic_stack 0
		.amdhsa_system_sgpr_private_segment_wavefront_offset 0
		.amdhsa_system_sgpr_workgroup_id_x 1
		.amdhsa_system_sgpr_workgroup_id_y 0
		.amdhsa_system_sgpr_workgroup_id_z 0
		.amdhsa_system_sgpr_workgroup_info 0
		.amdhsa_system_vgpr_workitem_id 0
		.amdhsa_next_free_vgpr 24
		.amdhsa_next_free_sgpr 15
		.amdhsa_reserve_vcc 1
		.amdhsa_reserve_flat_scratch 0
		.amdhsa_float_round_mode_32 0
		.amdhsa_float_round_mode_16_64 0
		.amdhsa_float_denorm_mode_32 3
		.amdhsa_float_denorm_mode_16_64 3
		.amdhsa_dx10_clamp 1
		.amdhsa_ieee_mode 1
		.amdhsa_fp16_overflow 0
		.amdhsa_workgroup_processor_mode 1
		.amdhsa_memory_ordered 1
		.amdhsa_forward_progress 1
		.amdhsa_shared_vgpr_count 0
		.amdhsa_exception_fp_ieee_invalid_op 0
		.amdhsa_exception_fp_denorm_src 0
		.amdhsa_exception_fp_ieee_div_zero 0
		.amdhsa_exception_fp_ieee_overflow 0
		.amdhsa_exception_fp_ieee_underflow 0
		.amdhsa_exception_fp_ieee_inexact 0
		.amdhsa_exception_int_div_zero 0
	.end_amdhsa_kernel
	.text
.Lfunc_end3:
	.size	check_numerics_fp8, .Lfunc_end3-check_numerics_fp8
                                        ; -- End function
	.set check_numerics_fp8.num_vgpr, 24
	.set check_numerics_fp8.num_agpr, 0
	.set check_numerics_fp8.numbered_sgpr, 15
	.set check_numerics_fp8.num_named_barrier, 0
	.set check_numerics_fp8.private_seg_size, 0
	.set check_numerics_fp8.uses_vcc, 1
	.set check_numerics_fp8.uses_flat_scratch, 0
	.set check_numerics_fp8.has_dyn_sized_stack, 0
	.set check_numerics_fp8.has_recursion, 0
	.set check_numerics_fp8.has_indirect_call, 0
	.section	.AMDGPU.csdata,"",@progbits
; Kernel info:
; codeLenInByte = 3664
; TotalNumSgprs: 17
; NumVgprs: 24
; ScratchSize: 0
; MemoryBound: 0
; FloatMode: 240
; IeeeMode: 1
; LDSByteSize: 4096 bytes/workgroup (compile time only)
; SGPRBlocks: 0
; VGPRBlocks: 2
; NumSGPRsForWavesPerEU: 17
; NumVGPRsForWavesPerEU: 24
; Occupancy: 16
; WaveLimiterHint : 0
; COMPUTE_PGM_RSRC2:SCRATCH_EN: 0
; COMPUTE_PGM_RSRC2:USER_SGPR: 6
; COMPUTE_PGM_RSRC2:TRAP_HANDLER: 0
; COMPUTE_PGM_RSRC2:TGID_X_EN: 1
; COMPUTE_PGM_RSRC2:TGID_Y_EN: 0
; COMPUTE_PGM_RSRC2:TGID_Z_EN: 0
; COMPUTE_PGM_RSRC2:TIDIG_COMP_CNT: 0
	.text
	.protected	check_numerics_bf8      ; -- Begin function check_numerics_bf8
	.globl	check_numerics_bf8
	.p2align	8
	.type	check_numerics_bf8,@function
check_numerics_bf8:                     ; @check_numerics_bf8
; %bb.0:
	s_clause 0x1
	s_load_dword s0, s[4:5], 0x20
	s_load_dwordx4 s[8:11], s[4:5], 0x8
	s_add_u32 s1, s4, 32
	s_addc_u32 s3, s5, 0
	v_mov_b32_e32 v1, 0
	v_mov_b32_e32 v5, 4
	v_mov_b32_e32 v6, 0x7b
	v_mov_b32_e32 v2, v1
	s_waitcnt lgkmcnt(0)
	s_cmp_lt_u32 s6, s0
	s_cselect_b32 s2, 12, 18
	s_add_u32 s2, s1, s2
	s_addc_u32 s3, s3, 0
	s_mov_b32 s1, exec_lo
	global_load_ushort v7, v1, s[2:3]
	s_waitcnt vmcnt(0)
	v_mad_u64_u32 v[3:4], null, s6, v7, v[0:1]
	v_mov_b32_e32 v4, v1
	s_mov_b32 s6, 0
	v_cmpx_gt_u64_e64 s[8:9], v[3:4]
	s_cbranch_execz .LBB4_90
; %bb.1:
	s_load_dwordx2 s[2:3], s[4:5], 0x0
	v_mul_lo_u32 v7, s0, v7
	v_mov_b32_e32 v8, 0
	v_mov_b32_e32 v5, 4
	;; [unrolled: 1-line block ×5, first 2 shown]
	v_bfrev_b32_e32 v11, 1
	v_mov_b32_e32 v12, 0x80
	v_mov_b32_e32 v13, -1
	v_mov_b32_e32 v1, 0
	v_mov_b32_e32 v2, 0
	s_branch .LBB4_3
.LBB4_2:                                ;   in Loop: Header=BB4_3 Depth=1
	s_or_b32 exec_lo, exec_lo, s0
	v_add_co_u32 v3, vcc_lo, v3, v7
	v_add_co_ci_u32_e64 v4, null, 0, v4, vcc_lo
	v_cmp_gt_f32_e32 vcc_lo, v19, v20
	v_cmp_lt_f32_e64 s0, v17, v18
	v_add_f32_e64 v2, v2, |v16|
	v_add_f32_e32 v1, v1, v15
	v_cndmask_b32_e32 v5, v14, v5, vcc_lo
	v_cmp_le_u64_e32 vcc_lo, s[8:9], v[3:4]
	v_cndmask_b32_e64 v6, v14, v6, s0
	s_or_b32 s6, vcc_lo, s6
	s_andn2_b32 exec_lo, exec_lo, s6
	s_cbranch_execz .LBB4_89
.LBB4_3:                                ; =>This Inner Loop Header: Depth=1
	s_waitcnt lgkmcnt(0)
	v_add_co_u32 v14, vcc_lo, s2, v3
	v_add_co_ci_u32_e64 v15, null, s3, v4, vcc_lo
	global_load_sbyte v14, v[14:15], off
	v_mov_b32_e32 v15, 0
	s_waitcnt vmcnt(0)
	v_cmp_ne_u16_e32 vcc_lo, 0, v14
	s_and_saveexec_b32 s7, vcc_lo
	s_cbranch_execz .LBB4_13
; %bb.4:                                ;   in Loop: Header=BB4_3 Depth=1
	v_bfrev_b32_e32 v15, 1
	s_mov_b32 s12, exec_lo
	v_cmpx_ne_u16_e32 0xff80, v14
	s_cbranch_execz .LBB4_12
; %bb.5:                                ;   in Loop: Header=BB4_3 Depth=1
	v_lshrrev_b16 v15, 2, v14
	v_and_b32_e32 v16, 3, v14
	s_mov_b32 s13, exec_lo
	v_and_b32_e32 v17, 31, v15
                                        ; implicit-def: $vgpr15
	v_cmpx_lt_i32_e32 30, v17
	s_xor_b32 s13, exec_lo, s13
; %bb.6:                                ;   in Loop: Header=BB4_3 Depth=1
	v_cmp_lt_i16_e64 s0, -1, v14
                                        ; implicit-def: $vgpr17
	v_cndmask_b32_e64 v15, 0xff800000, v10, s0
	v_cmp_eq_u32_e64 s0, 0, v16
                                        ; implicit-def: $vgpr16
	v_cndmask_b32_e64 v15, 0x7f800001, v15, s0
; %bb.7:                                ;   in Loop: Header=BB4_3 Depth=1
	s_andn2_saveexec_b32 s13, s13
	s_cbranch_execz .LBB4_11
; %bb.8:                                ;   in Loop: Header=BB4_3 Depth=1
	s_mov_b32 s14, exec_lo
	v_cmpx_eq_u32_e32 0, v17
; %bb.9:                                ;   in Loop: Header=BB4_3 Depth=1
	v_ffbh_u32_e32 v15, v16
	v_subrev_nc_u32_e32 v16, 29, v15
	v_sub_nc_u32_e32 v17, 30, v15
	v_lshlrev_b32_sdwa v16, v16, v14 dst_sel:DWORD dst_unused:UNUSED_PAD src0_sel:DWORD src1_sel:BYTE_0
	v_and_b32_e32 v16, 3, v16
; %bb.10:                               ;   in Loop: Header=BB4_3 Depth=1
	s_or_b32 exec_lo, exec_lo, s14
	v_lshlrev_b32_e32 v15, 21, v16
	v_and_b32_sdwa v16, sext(v14), v11 dst_sel:DWORD dst_unused:UNUSED_PAD src0_sel:WORD_0 src1_sel:DWORD
	v_lshl_add_u32 v17, v17, 23, 0x38000000
	v_or3_b32 v15, v16, v17, v15
.LBB4_11:                               ;   in Loop: Header=BB4_3 Depth=1
	s_or_b32 exec_lo, exec_lo, s13
.LBB4_12:                               ;   in Loop: Header=BB4_3 Depth=1
	s_or_b32 exec_lo, exec_lo, s12
.LBB4_13:                               ;   in Loop: Header=BB4_3 Depth=1
	s_or_b32 exec_lo, exec_lo, s7
	v_mov_b32_e32 v17, 0
	v_mov_b32_e32 v16, 0
	s_and_saveexec_b32 s7, vcc_lo
	s_cbranch_execz .LBB4_23
; %bb.14:                               ;   in Loop: Header=BB4_3 Depth=1
	v_bfrev_b32_e32 v16, 1
	s_mov_b32 s12, exec_lo
	v_cmpx_ne_u16_e32 0xff80, v14
	s_cbranch_execz .LBB4_22
; %bb.15:                               ;   in Loop: Header=BB4_3 Depth=1
	v_lshrrev_b16 v16, 2, v14
	v_and_b32_e32 v18, 3, v14
	s_mov_b32 s13, exec_lo
	v_and_b32_e32 v19, 31, v16
                                        ; implicit-def: $vgpr16
	v_cmpx_lt_i32_e32 30, v19
	s_xor_b32 s13, exec_lo, s13
; %bb.16:                               ;   in Loop: Header=BB4_3 Depth=1
	v_cmp_lt_i16_e64 s0, -1, v14
                                        ; implicit-def: $vgpr19
	v_cndmask_b32_e64 v16, 0xff800000, v10, s0
	v_cmp_eq_u32_e64 s0, 0, v18
                                        ; implicit-def: $vgpr18
	v_cndmask_b32_e64 v16, 0x7f800001, v16, s0
; %bb.17:                               ;   in Loop: Header=BB4_3 Depth=1
	s_andn2_saveexec_b32 s13, s13
	s_cbranch_execz .LBB4_21
; %bb.18:                               ;   in Loop: Header=BB4_3 Depth=1
	s_mov_b32 s14, exec_lo
	v_cmpx_eq_u32_e32 0, v19
; %bb.19:                               ;   in Loop: Header=BB4_3 Depth=1
	v_ffbh_u32_e32 v16, v18
	v_subrev_nc_u32_e32 v18, 29, v16
	v_sub_nc_u32_e32 v19, 30, v16
	v_lshlrev_b32_sdwa v18, v18, v14 dst_sel:DWORD dst_unused:UNUSED_PAD src0_sel:DWORD src1_sel:BYTE_0
	v_and_b32_e32 v18, 3, v18
; %bb.20:                               ;   in Loop: Header=BB4_3 Depth=1
	s_or_b32 exec_lo, exec_lo, s14
	v_lshlrev_b32_e32 v16, 21, v18
	v_and_b32_sdwa v18, sext(v14), v11 dst_sel:DWORD dst_unused:UNUSED_PAD src0_sel:WORD_0 src1_sel:DWORD
	v_lshl_add_u32 v19, v19, 23, 0x38000000
	v_or3_b32 v16, v18, v19, v16
.LBB4_21:                               ;   in Loop: Header=BB4_3 Depth=1
	s_or_b32 exec_lo, exec_lo, s13
.LBB4_22:                               ;   in Loop: Header=BB4_3 Depth=1
	s_or_b32 exec_lo, exec_lo, s12
.LBB4_23:                               ;   in Loop: Header=BB4_3 Depth=1
	s_or_b32 exec_lo, exec_lo, s7
	v_cmp_ne_u16_sdwa s0, v6, v8 src0_sel:BYTE_0 src1_sel:DWORD
	s_and_saveexec_b32 s7, s0
	s_cbranch_execz .LBB4_33
; %bb.24:                               ;   in Loop: Header=BB4_3 Depth=1
	v_cmp_ne_u16_sdwa s0, v6, v12 src0_sel:BYTE_0 src1_sel:DWORD
	v_bfrev_b32_e32 v17, 1
	s_and_saveexec_b32 s12, s0
	s_cbranch_execz .LBB4_32
; %bb.25:                               ;   in Loop: Header=BB4_3 Depth=1
	v_lshrrev_b16 v17, 2, v6
	v_and_b32_e32 v18, 3, v6
	s_mov_b32 s13, exec_lo
	v_and_b32_e32 v19, 31, v17
                                        ; implicit-def: $vgpr17
	v_cmpx_lt_i32_e32 30, v19
	s_xor_b32 s13, exec_lo, s13
; %bb.26:                               ;   in Loop: Header=BB4_3 Depth=1
	v_cmp_gt_i16_sdwa s0, sext(v6), v13 src0_sel:BYTE_0 src1_sel:DWORD
                                        ; implicit-def: $vgpr19
	v_cndmask_b32_e64 v17, 0xff800000, v10, s0
	v_cmp_eq_u32_e64 s0, 0, v18
                                        ; implicit-def: $vgpr18
	v_cndmask_b32_e64 v17, 0x7f800001, v17, s0
; %bb.27:                               ;   in Loop: Header=BB4_3 Depth=1
	s_andn2_saveexec_b32 s13, s13
	s_cbranch_execz .LBB4_31
; %bb.28:                               ;   in Loop: Header=BB4_3 Depth=1
	s_mov_b32 s14, exec_lo
	v_cmpx_eq_u32_e32 0, v19
; %bb.29:                               ;   in Loop: Header=BB4_3 Depth=1
	v_ffbh_u32_e32 v17, v18
	v_subrev_nc_u32_e32 v18, 29, v17
	v_sub_nc_u32_e32 v19, 30, v17
	v_lshlrev_b32_sdwa v18, v18, v6 dst_sel:DWORD dst_unused:UNUSED_PAD src0_sel:DWORD src1_sel:BYTE_0
	v_and_b32_e32 v18, 3, v18
; %bb.30:                               ;   in Loop: Header=BB4_3 Depth=1
	s_or_b32 exec_lo, exec_lo, s14
	v_lshlrev_b32_e32 v17, 24, v6
	v_lshlrev_b32_e32 v18, 21, v18
	v_lshl_add_u32 v19, v19, 23, 0x38000000
	v_and_b32_e32 v17, 0x80000000, v17
	v_or3_b32 v17, v17, v19, v18
.LBB4_31:                               ;   in Loop: Header=BB4_3 Depth=1
	s_or_b32 exec_lo, exec_lo, s13
.LBB4_32:                               ;   in Loop: Header=BB4_3 Depth=1
	s_or_b32 exec_lo, exec_lo, s12
.LBB4_33:                               ;   in Loop: Header=BB4_3 Depth=1
	s_or_b32 exec_lo, exec_lo, s7
	v_mov_b32_e32 v19, 0
	v_mov_b32_e32 v18, 0
	s_and_saveexec_b32 s7, vcc_lo
	s_cbranch_execnz .LBB4_36
; %bb.34:                               ;   in Loop: Header=BB4_3 Depth=1
	s_or_b32 exec_lo, exec_lo, s7
	v_cmp_ne_u16_sdwa s0, v5, v8 src0_sel:BYTE_0 src1_sel:DWORD
	s_and_saveexec_b32 s7, s0
	s_cbranch_execnz .LBB4_45
.LBB4_35:                               ;   in Loop: Header=BB4_3 Depth=1
	s_or_b32 exec_lo, exec_lo, s7
	v_mov_b32_e32 v20, 0
	s_and_saveexec_b32 s7, vcc_lo
	s_cbranch_execnz .LBB4_54
	s_branch .LBB4_63
.LBB4_36:                               ;   in Loop: Header=BB4_3 Depth=1
	v_bfrev_b32_e32 v18, 1
	s_mov_b32 s12, exec_lo
	v_cmpx_ne_u16_e32 0xff80, v14
	s_cbranch_execz .LBB4_44
; %bb.37:                               ;   in Loop: Header=BB4_3 Depth=1
	v_lshrrev_b16 v18, 2, v14
	v_and_b32_e32 v20, 3, v14
	s_mov_b32 s13, exec_lo
	v_and_b32_e32 v21, 31, v18
                                        ; implicit-def: $vgpr18
	v_cmpx_lt_i32_e32 30, v21
	s_xor_b32 s13, exec_lo, s13
; %bb.38:                               ;   in Loop: Header=BB4_3 Depth=1
	v_cmp_lt_i16_e64 s0, -1, v14
                                        ; implicit-def: $vgpr21
	v_cndmask_b32_e64 v18, 0xff800000, v10, s0
	v_cmp_eq_u32_e64 s0, 0, v20
                                        ; implicit-def: $vgpr20
	v_cndmask_b32_e64 v18, 0x7f800001, v18, s0
; %bb.39:                               ;   in Loop: Header=BB4_3 Depth=1
	s_andn2_saveexec_b32 s13, s13
	s_cbranch_execz .LBB4_43
; %bb.40:                               ;   in Loop: Header=BB4_3 Depth=1
	s_mov_b32 s14, exec_lo
	v_cmpx_eq_u32_e32 0, v21
; %bb.41:                               ;   in Loop: Header=BB4_3 Depth=1
	v_ffbh_u32_e32 v18, v20
	v_subrev_nc_u32_e32 v20, 29, v18
	v_sub_nc_u32_e32 v21, 30, v18
	v_lshlrev_b32_sdwa v20, v20, v14 dst_sel:DWORD dst_unused:UNUSED_PAD src0_sel:DWORD src1_sel:BYTE_0
	v_and_b32_e32 v20, 3, v20
; %bb.42:                               ;   in Loop: Header=BB4_3 Depth=1
	s_or_b32 exec_lo, exec_lo, s14
	v_lshlrev_b32_e32 v18, 21, v20
	v_and_b32_sdwa v20, sext(v14), v11 dst_sel:DWORD dst_unused:UNUSED_PAD src0_sel:WORD_0 src1_sel:DWORD
	v_lshl_add_u32 v21, v21, 23, 0x38000000
	v_or3_b32 v18, v20, v21, v18
.LBB4_43:                               ;   in Loop: Header=BB4_3 Depth=1
	s_or_b32 exec_lo, exec_lo, s13
.LBB4_44:                               ;   in Loop: Header=BB4_3 Depth=1
	s_or_b32 exec_lo, exec_lo, s12
	s_or_b32 exec_lo, exec_lo, s7
	v_cmp_ne_u16_sdwa s0, v5, v8 src0_sel:BYTE_0 src1_sel:DWORD
	s_and_saveexec_b32 s7, s0
	s_cbranch_execz .LBB4_35
.LBB4_45:                               ;   in Loop: Header=BB4_3 Depth=1
	v_cmp_ne_u16_sdwa s0, v5, v12 src0_sel:BYTE_0 src1_sel:DWORD
	v_bfrev_b32_e32 v19, 1
	s_and_saveexec_b32 s12, s0
	s_cbranch_execz .LBB4_53
; %bb.46:                               ;   in Loop: Header=BB4_3 Depth=1
	v_lshrrev_b16 v19, 2, v5
	v_and_b32_e32 v20, 3, v5
	s_mov_b32 s13, exec_lo
	v_and_b32_e32 v21, 31, v19
                                        ; implicit-def: $vgpr19
	v_cmpx_lt_i32_e32 30, v21
	s_xor_b32 s13, exec_lo, s13
; %bb.47:                               ;   in Loop: Header=BB4_3 Depth=1
	v_cmp_gt_i16_sdwa s0, sext(v5), v13 src0_sel:BYTE_0 src1_sel:DWORD
                                        ; implicit-def: $vgpr21
	v_cndmask_b32_e64 v19, 0xff800000, v10, s0
	v_cmp_eq_u32_e64 s0, 0, v20
                                        ; implicit-def: $vgpr20
	v_cndmask_b32_e64 v19, 0x7f800001, v19, s0
; %bb.48:                               ;   in Loop: Header=BB4_3 Depth=1
	s_andn2_saveexec_b32 s13, s13
	s_cbranch_execz .LBB4_52
; %bb.49:                               ;   in Loop: Header=BB4_3 Depth=1
	s_mov_b32 s14, exec_lo
	v_cmpx_eq_u32_e32 0, v21
; %bb.50:                               ;   in Loop: Header=BB4_3 Depth=1
	v_ffbh_u32_e32 v19, v20
	v_subrev_nc_u32_e32 v20, 29, v19
	v_sub_nc_u32_e32 v21, 30, v19
	v_lshlrev_b32_sdwa v20, v20, v5 dst_sel:DWORD dst_unused:UNUSED_PAD src0_sel:DWORD src1_sel:BYTE_0
	v_and_b32_e32 v20, 3, v20
; %bb.51:                               ;   in Loop: Header=BB4_3 Depth=1
	s_or_b32 exec_lo, exec_lo, s14
	v_lshlrev_b32_e32 v19, 24, v5
	v_lshlrev_b32_e32 v20, 21, v20
	v_lshl_add_u32 v21, v21, 23, 0x38000000
	v_and_b32_e32 v19, 0x80000000, v19
	v_or3_b32 v19, v19, v21, v20
.LBB4_52:                               ;   in Loop: Header=BB4_3 Depth=1
	s_or_b32 exec_lo, exec_lo, s13
.LBB4_53:                               ;   in Loop: Header=BB4_3 Depth=1
	s_or_b32 exec_lo, exec_lo, s12
	s_or_b32 exec_lo, exec_lo, s7
	v_mov_b32_e32 v20, 0
	s_and_saveexec_b32 s7, vcc_lo
	s_cbranch_execz .LBB4_63
.LBB4_54:                               ;   in Loop: Header=BB4_3 Depth=1
	v_bfrev_b32_e32 v20, 1
	s_mov_b32 s12, exec_lo
	v_cmpx_ne_u16_e32 0xff80, v14
	s_cbranch_execz .LBB4_62
; %bb.55:                               ;   in Loop: Header=BB4_3 Depth=1
	v_lshrrev_b16 v20, 2, v14
	v_and_b32_e32 v21, 3, v14
	s_mov_b32 s13, exec_lo
	v_and_b32_e32 v22, 31, v20
                                        ; implicit-def: $vgpr20
	v_cmpx_lt_i32_e32 30, v22
	s_xor_b32 s13, exec_lo, s13
; %bb.56:                               ;   in Loop: Header=BB4_3 Depth=1
	v_cmp_lt_i16_e64 s0, -1, v14
                                        ; implicit-def: $vgpr22
	v_cndmask_b32_e64 v20, 0xff800000, v10, s0
	v_cmp_eq_u32_e64 s0, 0, v21
                                        ; implicit-def: $vgpr21
	v_cndmask_b32_e64 v20, 0x7f800001, v20, s0
; %bb.57:                               ;   in Loop: Header=BB4_3 Depth=1
	s_andn2_saveexec_b32 s13, s13
	s_cbranch_execz .LBB4_61
; %bb.58:                               ;   in Loop: Header=BB4_3 Depth=1
	s_mov_b32 s14, exec_lo
	v_cmpx_eq_u32_e32 0, v22
; %bb.59:                               ;   in Loop: Header=BB4_3 Depth=1
	v_ffbh_u32_e32 v20, v21
	v_subrev_nc_u32_e32 v21, 29, v20
	v_sub_nc_u32_e32 v22, 30, v20
	v_lshlrev_b32_sdwa v21, v21, v14 dst_sel:DWORD dst_unused:UNUSED_PAD src0_sel:DWORD src1_sel:BYTE_0
	v_and_b32_e32 v21, 3, v21
; %bb.60:                               ;   in Loop: Header=BB4_3 Depth=1
	s_or_b32 exec_lo, exec_lo, s14
	v_lshlrev_b32_e32 v20, 21, v21
	v_and_b32_sdwa v21, sext(v14), v11 dst_sel:DWORD dst_unused:UNUSED_PAD src0_sel:WORD_0 src1_sel:DWORD
	v_lshl_add_u32 v22, v22, 23, 0x38000000
	v_or3_b32 v20, v21, v22, v20
.LBB4_61:                               ;   in Loop: Header=BB4_3 Depth=1
	s_or_b32 exec_lo, exec_lo, s13
.LBB4_62:                               ;   in Loop: Header=BB4_3 Depth=1
	s_or_b32 exec_lo, exec_lo, s12
.LBB4_63:                               ;   in Loop: Header=BB4_3 Depth=1
	s_or_b32 exec_lo, exec_lo, s7
	s_mov_b32 s7, exec_lo
	v_cmpx_eq_f32_e32 0, v16
	s_cbranch_execz .LBB4_65
; %bb.64:                               ;   in Loop: Header=BB4_3 Depth=1
	global_store_dword v8, v9, s[10:11] offset:16
.LBB4_65:                               ;   in Loop: Header=BB4_3 Depth=1
	s_or_b32 exec_lo, exec_lo, s7
	v_mov_b32_e32 v21, 0
	s_and_saveexec_b32 s7, vcc_lo
	s_cbranch_execz .LBB4_75
; %bb.66:                               ;   in Loop: Header=BB4_3 Depth=1
	v_bfrev_b32_e32 v21, 1
	s_mov_b32 s12, exec_lo
	v_cmpx_ne_u16_e32 0xff80, v14
	s_cbranch_execz .LBB4_74
; %bb.67:                               ;   in Loop: Header=BB4_3 Depth=1
	v_lshrrev_b16 v21, 2, v14
	v_and_b32_e32 v22, 3, v14
	s_mov_b32 s13, exec_lo
	v_and_b32_e32 v23, 31, v21
                                        ; implicit-def: $vgpr21
	v_cmpx_lt_i32_e32 30, v23
	s_xor_b32 s13, exec_lo, s13
; %bb.68:                               ;   in Loop: Header=BB4_3 Depth=1
	v_cmp_lt_i16_e64 s0, -1, v14
                                        ; implicit-def: $vgpr23
	v_cndmask_b32_e64 v21, 0xff800000, v10, s0
	v_cmp_eq_u32_e64 s0, 0, v22
                                        ; implicit-def: $vgpr22
	v_cndmask_b32_e64 v21, 0x7f800001, v21, s0
; %bb.69:                               ;   in Loop: Header=BB4_3 Depth=1
	s_andn2_saveexec_b32 s13, s13
	s_cbranch_execz .LBB4_73
; %bb.70:                               ;   in Loop: Header=BB4_3 Depth=1
	s_mov_b32 s14, exec_lo
	v_cmpx_eq_u32_e32 0, v23
; %bb.71:                               ;   in Loop: Header=BB4_3 Depth=1
	v_ffbh_u32_e32 v21, v22
	v_subrev_nc_u32_e32 v22, 29, v21
	v_sub_nc_u32_e32 v23, 30, v21
	v_lshlrev_b32_sdwa v22, v22, v14 dst_sel:DWORD dst_unused:UNUSED_PAD src0_sel:DWORD src1_sel:BYTE_0
	v_and_b32_e32 v22, 3, v22
; %bb.72:                               ;   in Loop: Header=BB4_3 Depth=1
	s_or_b32 exec_lo, exec_lo, s14
	v_lshlrev_b32_e32 v21, 21, v22
	v_and_b32_sdwa v22, sext(v14), v11 dst_sel:DWORD dst_unused:UNUSED_PAD src0_sel:WORD_0 src1_sel:DWORD
	v_lshl_add_u32 v23, v23, 23, 0x38000000
	v_or3_b32 v21, v22, v23, v21
.LBB4_73:                               ;   in Loop: Header=BB4_3 Depth=1
	s_or_b32 exec_lo, exec_lo, s13
.LBB4_74:                               ;   in Loop: Header=BB4_3 Depth=1
	s_or_b32 exec_lo, exec_lo, s12
.LBB4_75:                               ;   in Loop: Header=BB4_3 Depth=1
	s_or_b32 exec_lo, exec_lo, s7
	s_mov_b32 s7, exec_lo
	v_cmpx_u_f32_e32 v21, v21
	s_cbranch_execnz .LBB4_78
; %bb.76:                               ;   in Loop: Header=BB4_3 Depth=1
	s_or_b32 exec_lo, exec_lo, s7
	v_mov_b32_e32 v21, 0
	s_and_saveexec_b32 s0, vcc_lo
	s_cbranch_execnz .LBB4_79
.LBB4_77:                               ;   in Loop: Header=BB4_3 Depth=1
	s_or_b32 exec_lo, exec_lo, s0
	v_cmp_class_f32_e64 s7, v21, 0x204
	s_and_saveexec_b32 s0, s7
	s_cbranch_execz .LBB4_2
	s_branch .LBB4_88
.LBB4_78:                               ;   in Loop: Header=BB4_3 Depth=1
	global_store_dword v8, v9, s[10:11] offset:20
	s_or_b32 exec_lo, exec_lo, s7
	v_mov_b32_e32 v21, 0
	s_and_saveexec_b32 s0, vcc_lo
	s_cbranch_execz .LBB4_77
.LBB4_79:                               ;   in Loop: Header=BB4_3 Depth=1
	v_bfrev_b32_e32 v21, 1
	s_mov_b32 s7, exec_lo
	v_cmpx_ne_u16_e32 0xff80, v14
	s_cbranch_execz .LBB4_87
; %bb.80:                               ;   in Loop: Header=BB4_3 Depth=1
	v_lshrrev_b16 v21, 2, v14
	v_and_b32_e32 v22, 3, v14
	s_mov_b32 s12, exec_lo
	v_and_b32_e32 v23, 31, v21
                                        ; implicit-def: $vgpr21
	v_cmpx_lt_i32_e32 30, v23
	s_xor_b32 s12, exec_lo, s12
; %bb.81:                               ;   in Loop: Header=BB4_3 Depth=1
	v_cmp_lt_i16_e32 vcc_lo, -1, v14
                                        ; implicit-def: $vgpr23
	v_cndmask_b32_e32 v21, 0xff800000, v10, vcc_lo
	v_cmp_eq_u32_e32 vcc_lo, 0, v22
                                        ; implicit-def: $vgpr22
	v_cndmask_b32_e32 v21, 0x7f800001, v21, vcc_lo
; %bb.82:                               ;   in Loop: Header=BB4_3 Depth=1
	s_andn2_saveexec_b32 s12, s12
	s_cbranch_execz .LBB4_86
; %bb.83:                               ;   in Loop: Header=BB4_3 Depth=1
	s_mov_b32 s13, exec_lo
	v_cmpx_eq_u32_e32 0, v23
; %bb.84:                               ;   in Loop: Header=BB4_3 Depth=1
	v_ffbh_u32_e32 v21, v22
	v_subrev_nc_u32_e32 v22, 29, v21
	v_sub_nc_u32_e32 v23, 30, v21
	v_lshlrev_b32_sdwa v22, v22, v14 dst_sel:DWORD dst_unused:UNUSED_PAD src0_sel:DWORD src1_sel:BYTE_0
	v_and_b32_e32 v22, 3, v22
; %bb.85:                               ;   in Loop: Header=BB4_3 Depth=1
	s_or_b32 exec_lo, exec_lo, s13
	v_lshlrev_b32_e32 v21, 21, v22
	v_and_b32_sdwa v22, sext(v14), v11 dst_sel:DWORD dst_unused:UNUSED_PAD src0_sel:WORD_0 src1_sel:DWORD
	v_lshl_add_u32 v23, v23, 23, 0x38000000
	v_or3_b32 v21, v22, v23, v21
.LBB4_86:                               ;   in Loop: Header=BB4_3 Depth=1
	s_or_b32 exec_lo, exec_lo, s12
.LBB4_87:                               ;   in Loop: Header=BB4_3 Depth=1
	s_or_b32 exec_lo, exec_lo, s7
	s_or_b32 exec_lo, exec_lo, s0
	v_cmp_class_f32_e64 s7, v21, 0x204
	s_and_saveexec_b32 s0, s7
	s_cbranch_execz .LBB4_2
.LBB4_88:                               ;   in Loop: Header=BB4_3 Depth=1
	global_store_dword v8, v9, s[10:11] offset:24
	s_branch .LBB4_2
.LBB4_89:
	s_or_b32 exec_lo, exec_lo, s6
.LBB4_90:
	s_or_b32 exec_lo, exec_lo, s1
	s_load_dword s0, s[4:5], 0x18
	s_waitcnt lgkmcnt(0)
	s_bitcmp1_b32 s0, 0
	s_cselect_b32 s0, -1, 0
	s_and_b32 vcc_lo, exec_lo, s0
	s_cbranch_vccz .LBB4_140
; %bb.91:
	v_mov_b32_e32 v4, 0
	v_lshlrev_b32_e32 v3, 4, v0
	v_mov_b32_e32 v7, 0
	v_cmp_ne_u16_sdwa s1, v6, v4 src0_sel:BYTE_0 src1_sel:DWORD
	ds_write_b64 v3, v[1:2]
	s_and_saveexec_b32 s0, s1
	s_cbranch_execz .LBB4_101
; %bb.92:
	v_mov_b32_e32 v1, 0x80
	v_bfrev_b32_e32 v7, 1
	v_cmp_ne_u16_sdwa s2, v6, v1 src0_sel:BYTE_0 src1_sel:DWORD
	s_and_saveexec_b32 s1, s2
	s_cbranch_execz .LBB4_100
; %bb.93:
	v_lshrrev_b16 v1, 2, v6
	s_mov_b32 s2, exec_lo
                                        ; implicit-def: $vgpr7
	v_and_b32_e32 v2, 31, v1
	v_and_b32_e32 v1, 3, v6
	v_cmpx_lt_i32_e32 30, v2
	s_xor_b32 s2, exec_lo, s2
; %bb.94:
	v_mov_b32_e32 v2, -1
	v_mov_b32_e32 v7, 0x7f800000
	v_cmp_gt_i16_sdwa vcc_lo, sext(v6), v2 src0_sel:BYTE_0 src1_sel:DWORD
                                        ; implicit-def: $vgpr6
	v_cndmask_b32_e32 v2, 0xff800000, v7, vcc_lo
	v_cmp_eq_u32_e32 vcc_lo, 0, v1
                                        ; implicit-def: $vgpr1
	v_cndmask_b32_e32 v7, 0x7f800001, v2, vcc_lo
                                        ; implicit-def: $vgpr2
; %bb.95:
	s_andn2_saveexec_b32 s2, s2
	s_cbranch_execz .LBB4_99
; %bb.96:
	s_mov_b32 s3, exec_lo
	v_cmpx_eq_u32_e32 0, v2
; %bb.97:
	v_ffbh_u32_e32 v1, v1
	v_subrev_nc_u32_e32 v2, 29, v1
	v_lshlrev_b32_sdwa v7, v2, v6 dst_sel:DWORD dst_unused:UNUSED_PAD src0_sel:DWORD src1_sel:BYTE_0
	v_sub_nc_u32_e32 v2, 30, v1
	v_and_b32_e32 v1, 3, v7
; %bb.98:
	s_or_b32 exec_lo, exec_lo, s3
	v_lshlrev_b32_e32 v6, 24, v6
	v_lshlrev_b32_e32 v1, 21, v1
	v_lshl_add_u32 v2, v2, 23, 0x38000000
	v_and_b32_e32 v6, 0x80000000, v6
	v_or3_b32 v7, v6, v2, v1
.LBB4_99:
	s_or_b32 exec_lo, exec_lo, s2
.LBB4_100:
	s_or_b32 exec_lo, exec_lo, s1
.LBB4_101:
	s_or_b32 exec_lo, exec_lo, s0
	v_cmp_ne_u16_sdwa s1, v5, v4 src0_sel:BYTE_0 src1_sel:DWORD
	ds_write_b32 v3, v7 offset:8
	s_and_saveexec_b32 s0, s1
	s_cbranch_execz .LBB4_111
; %bb.102:
	v_mov_b32_e32 v1, 0x80
	v_bfrev_b32_e32 v4, 1
	v_cmp_ne_u16_sdwa s2, v5, v1 src0_sel:BYTE_0 src1_sel:DWORD
	s_and_saveexec_b32 s1, s2
	s_cbranch_execz .LBB4_110
; %bb.103:
	v_lshrrev_b16 v1, 2, v5
	s_mov_b32 s2, exec_lo
                                        ; implicit-def: $vgpr4
	v_and_b32_e32 v2, 31, v1
	v_and_b32_e32 v1, 3, v5
	v_cmpx_lt_i32_e32 30, v2
	s_xor_b32 s2, exec_lo, s2
; %bb.104:
	v_mov_b32_e32 v2, -1
	v_mov_b32_e32 v4, 0x7f800000
	v_cmp_gt_i16_sdwa vcc_lo, sext(v5), v2 src0_sel:BYTE_0 src1_sel:DWORD
                                        ; implicit-def: $vgpr5
	v_cndmask_b32_e32 v2, 0xff800000, v4, vcc_lo
	v_cmp_eq_u32_e32 vcc_lo, 0, v1
                                        ; implicit-def: $vgpr1
	v_cndmask_b32_e32 v4, 0x7f800001, v2, vcc_lo
                                        ; implicit-def: $vgpr2
; %bb.105:
	s_andn2_saveexec_b32 s2, s2
	s_cbranch_execz .LBB4_109
; %bb.106:
	s_mov_b32 s3, exec_lo
	v_cmpx_eq_u32_e32 0, v2
; %bb.107:
	v_ffbh_u32_e32 v1, v1
	v_subrev_nc_u32_e32 v2, 29, v1
	v_lshlrev_b32_sdwa v4, v2, v5 dst_sel:DWORD dst_unused:UNUSED_PAD src0_sel:DWORD src1_sel:BYTE_0
	v_sub_nc_u32_e32 v2, 30, v1
	v_and_b32_e32 v1, 3, v4
; %bb.108:
	s_or_b32 exec_lo, exec_lo, s3
	v_lshlrev_b32_e32 v4, 24, v5
	v_lshlrev_b32_e32 v1, 21, v1
	v_lshl_add_u32 v2, v2, 23, 0x38000000
	v_and_b32_e32 v4, 0x80000000, v4
	v_or3_b32 v4, v4, v2, v1
.LBB4_109:
	s_or_b32 exec_lo, exec_lo, s2
.LBB4_110:
	s_or_b32 exec_lo, exec_lo, s1
.LBB4_111:
	s_or_b32 exec_lo, exec_lo, s0
	s_mov_b32 s0, exec_lo
	ds_write_b32 v3, v4 offset:12
	s_waitcnt lgkmcnt(0)
	s_waitcnt_vscnt null, 0x0
	s_barrier
	buffer_gl0_inv
	v_cmpx_gt_u32_e32 0x80, v0
	s_cbranch_execz .LBB4_113
; %bb.112:
	ds_read_b128 v[4:7], v3 offset:2048
	ds_read_b128 v[8:11], v3
	s_waitcnt lgkmcnt(1)
	v_max_f32_e32 v1, v6, v6
	s_waitcnt lgkmcnt(0)
	v_max_f32_e32 v2, v10, v10
	v_max_f32_e32 v7, v7, v7
	v_max_f32_e32 v10, v11, v11
	v_add_f32_e32 v4, v4, v8
	v_add_f32_e32 v5, v5, v9
	v_min_f32_e32 v6, v2, v1
	v_max_f32_e32 v7, v10, v7
	ds_write_b128 v3, v[4:7]
.LBB4_113:
	s_or_b32 exec_lo, exec_lo, s0
	s_mov_b32 s0, exec_lo
	s_waitcnt lgkmcnt(0)
	s_barrier
	buffer_gl0_inv
	v_cmpx_gt_u32_e32 64, v0
	s_cbranch_execz .LBB4_115
; %bb.114:
	ds_read_b128 v[4:7], v3 offset:1024
	ds_read_b128 v[8:11], v3
	s_waitcnt lgkmcnt(1)
	v_max_f32_e32 v1, v6, v6
	s_waitcnt lgkmcnt(0)
	v_max_f32_e32 v2, v10, v10
	v_max_f32_e32 v7, v7, v7
	v_max_f32_e32 v10, v11, v11
	v_add_f32_e32 v4, v4, v8
	v_add_f32_e32 v5, v5, v9
	v_min_f32_e32 v6, v2, v1
	v_max_f32_e32 v7, v10, v7
	ds_write_b128 v3, v[4:7]
.LBB4_115:
	s_or_b32 exec_lo, exec_lo, s0
	s_mov_b32 s0, exec_lo
	s_waitcnt lgkmcnt(0)
	;; [unrolled: 22-line block ×6, first 2 shown]
	s_barrier
	buffer_gl0_inv
	v_cmpx_gt_u32_e32 2, v0
	s_cbranch_execz .LBB4_125
; %bb.124:
	ds_read_b128 v[4:7], v3 offset:32
	ds_read_b128 v[8:11], v3
	s_waitcnt lgkmcnt(1)
	v_max_f32_e32 v1, v6, v6
	s_waitcnt lgkmcnt(0)
	v_max_f32_e32 v2, v10, v10
	v_max_f32_e32 v7, v7, v7
	;; [unrolled: 1-line block ×3, first 2 shown]
	v_add_f32_e32 v4, v4, v8
	v_add_f32_e32 v5, v5, v9
	v_min_f32_e32 v6, v2, v1
	v_max_f32_e32 v7, v10, v7
	ds_write_b128 v3, v[4:7]
.LBB4_125:
	s_or_b32 exec_lo, exec_lo, s0
	v_cmp_eq_u32_e32 vcc_lo, 0, v0
	s_waitcnt lgkmcnt(0)
	s_barrier
	buffer_gl0_inv
	s_and_saveexec_b32 s0, vcc_lo
	s_cbranch_execz .LBB4_127
; %bb.126:
	ds_read_b128 v[4:7], v3 offset:16
	ds_read_b128 v[8:11], v3
	s_waitcnt lgkmcnt(1)
	v_max_f32_e32 v0, v6, v6
	s_waitcnt lgkmcnt(0)
	v_max_f32_e32 v1, v10, v10
	v_max_f32_e32 v2, v7, v7
	;; [unrolled: 1-line block ×3, first 2 shown]
	v_add_f32_e32 v4, v4, v8
	v_add_f32_e32 v5, v5, v9
	v_min_f32_e32 v6, v1, v0
	v_max_f32_e32 v7, v7, v2
	ds_write_b128 v3, v[4:7]
.LBB4_127:
	s_or_b32 exec_lo, exec_lo, s0
	s_waitcnt lgkmcnt(0)
	s_barrier
	buffer_gl0_inv
	s_and_saveexec_b32 s0, vcc_lo
	s_cbranch_execz .LBB4_140
; %bb.128:
	s_mov_b32 s2, exec_lo
	s_mov_b32 s1, 0
	v_mbcnt_lo_u32_b32 v0, s2, 0
	s_mov_b32 s0, exec_lo
	v_cmpx_eq_u32_e32 0, v0
	s_cbranch_execz .LBB4_131
; %bb.129:
	v_mov_b32_e32 v2, 0
	s_load_dword s3, s[10:11], 0x0
	s_bcnt1_i32_b32 s2, s2
	v_cvt_f32_ubyte0_e32 v1, s2
	ds_read_b32 v0, v2
	s_waitcnt lgkmcnt(0)
	v_mul_f32_e32 v3, v0, v1
	v_mov_b32_e32 v1, s3
.LBB4_130:                              ; =>This Inner Loop Header: Depth=1
	v_add_f32_e32 v0, v1, v3
	global_atomic_cmpswap v0, v2, v[0:1], s[10:11] glc
	s_waitcnt vmcnt(0)
	v_cmp_eq_u32_e32 vcc_lo, v0, v1
	v_mov_b32_e32 v1, v0
	s_or_b32 s1, vcc_lo, s1
	s_andn2_b32 exec_lo, exec_lo, s1
	s_cbranch_execnz .LBB4_130
.LBB4_131:
	s_or_b32 exec_lo, exec_lo, s0
	s_mov_b32 s2, exec_lo
	s_mov_b32 s1, 0
	v_mbcnt_lo_u32_b32 v0, s2, 0
	s_mov_b32 s0, exec_lo
	v_cmpx_eq_u32_e32 0, v0
	s_cbranch_execz .LBB4_134
; %bb.132:
	v_mov_b32_e32 v2, 0
	s_load_dword s3, s[10:11], 0x4
	s_bcnt1_i32_b32 s2, s2
	v_cvt_f32_ubyte0_e32 v1, s2
	ds_read_b32 v0, v2 offset:4
	s_waitcnt lgkmcnt(0)
	v_mul_f32_e32 v3, v0, v1
	v_mov_b32_e32 v1, s3
.LBB4_133:                              ; =>This Inner Loop Header: Depth=1
	v_add_f32_e32 v0, v1, v3
	global_atomic_cmpswap v0, v2, v[0:1], s[10:11] offset:4 glc
	s_waitcnt vmcnt(0)
	v_cmp_eq_u32_e32 vcc_lo, v0, v1
	v_mov_b32_e32 v1, v0
	s_or_b32 s1, vcc_lo, s1
	s_andn2_b32 exec_lo, exec_lo, s1
	s_cbranch_execnz .LBB4_133
.LBB4_134:
	s_or_b32 exec_lo, exec_lo, s0
	v_mbcnt_lo_u32_b32 v0, exec_lo, 0
	s_mov_b32 s1, 0
	s_mov_b32 s0, exec_lo
	v_cmpx_eq_u32_e32 0, v0
	s_cbranch_execz .LBB4_137
; %bb.135:
	v_mov_b32_e32 v2, 0
	s_load_dword s2, s[10:11], 0x8
	ds_read_b32 v0, v2 offset:8
	s_waitcnt lgkmcnt(0)
	v_mov_b32_e32 v1, s2
	v_max_f32_e32 v3, v0, v0
.LBB4_136:                              ; =>This Inner Loop Header: Depth=1
	v_max_f32_e32 v0, v1, v1
	v_min_f32_e32 v0, v0, v3
	global_atomic_cmpswap v0, v2, v[0:1], s[10:11] offset:8 glc
	s_waitcnt vmcnt(0)
	v_cmp_eq_u32_e32 vcc_lo, v0, v1
	v_mov_b32_e32 v1, v0
	s_or_b32 s1, vcc_lo, s1
	s_andn2_b32 exec_lo, exec_lo, s1
	s_cbranch_execnz .LBB4_136
.LBB4_137:
	s_or_b32 exec_lo, exec_lo, s0
	v_mbcnt_lo_u32_b32 v0, exec_lo, 0
	s_mov_b32 s0, 0
	v_cmp_eq_u32_e32 vcc_lo, 0, v0
	s_and_b32 exec_lo, exec_lo, vcc_lo
	s_cbranch_execz .LBB4_140
; %bb.138:
	v_mov_b32_e32 v2, 0
	s_load_dword s1, s[10:11], 0xc
	ds_read_b32 v0, v2 offset:12
	s_waitcnt lgkmcnt(0)
	v_mov_b32_e32 v1, s1
	v_max_f32_e32 v3, v0, v0
.LBB4_139:                              ; =>This Inner Loop Header: Depth=1
	v_max_f32_e32 v0, v1, v1
	v_max_f32_e32 v0, v0, v3
	global_atomic_cmpswap v0, v2, v[0:1], s[10:11] offset:12 glc
	s_waitcnt vmcnt(0)
	v_cmp_eq_u32_e32 vcc_lo, v0, v1
	v_mov_b32_e32 v1, v0
	s_or_b32 s0, vcc_lo, s0
	s_andn2_b32 exec_lo, exec_lo, s0
	s_cbranch_execnz .LBB4_139
.LBB4_140:
	s_endpgm
	.section	.rodata,"a",@progbits
	.p2align	6, 0x0
	.amdhsa_kernel check_numerics_bf8
		.amdhsa_group_segment_fixed_size 4096
		.amdhsa_private_segment_fixed_size 0
		.amdhsa_kernarg_size 288
		.amdhsa_user_sgpr_count 6
		.amdhsa_user_sgpr_private_segment_buffer 1
		.amdhsa_user_sgpr_dispatch_ptr 0
		.amdhsa_user_sgpr_queue_ptr 0
		.amdhsa_user_sgpr_kernarg_segment_ptr 1
		.amdhsa_user_sgpr_dispatch_id 0
		.amdhsa_user_sgpr_flat_scratch_init 0
		.amdhsa_user_sgpr_private_segment_size 0
		.amdhsa_wavefront_size32 1
		.amdhsa_uses_dynamic_stack 0
		.amdhsa_system_sgpr_private_segment_wavefront_offset 0
		.amdhsa_system_sgpr_workgroup_id_x 1
		.amdhsa_system_sgpr_workgroup_id_y 0
		.amdhsa_system_sgpr_workgroup_id_z 0
		.amdhsa_system_sgpr_workgroup_info 0
		.amdhsa_system_vgpr_workitem_id 0
		.amdhsa_next_free_vgpr 24
		.amdhsa_next_free_sgpr 15
		.amdhsa_reserve_vcc 1
		.amdhsa_reserve_flat_scratch 0
		.amdhsa_float_round_mode_32 0
		.amdhsa_float_round_mode_16_64 0
		.amdhsa_float_denorm_mode_32 3
		.amdhsa_float_denorm_mode_16_64 3
		.amdhsa_dx10_clamp 1
		.amdhsa_ieee_mode 1
		.amdhsa_fp16_overflow 0
		.amdhsa_workgroup_processor_mode 1
		.amdhsa_memory_ordered 1
		.amdhsa_forward_progress 1
		.amdhsa_shared_vgpr_count 0
		.amdhsa_exception_fp_ieee_invalid_op 0
		.amdhsa_exception_fp_denorm_src 0
		.amdhsa_exception_fp_ieee_div_zero 0
		.amdhsa_exception_fp_ieee_overflow 0
		.amdhsa_exception_fp_ieee_underflow 0
		.amdhsa_exception_fp_ieee_inexact 0
		.amdhsa_exception_int_div_zero 0
	.end_amdhsa_kernel
	.text
.Lfunc_end4:
	.size	check_numerics_bf8, .Lfunc_end4-check_numerics_bf8
                                        ; -- End function
	.set check_numerics_bf8.num_vgpr, 24
	.set check_numerics_bf8.num_agpr, 0
	.set check_numerics_bf8.numbered_sgpr, 15
	.set check_numerics_bf8.num_named_barrier, 0
	.set check_numerics_bf8.private_seg_size, 0
	.set check_numerics_bf8.uses_vcc, 1
	.set check_numerics_bf8.uses_flat_scratch, 0
	.set check_numerics_bf8.has_dyn_sized_stack, 0
	.set check_numerics_bf8.has_recursion, 0
	.set check_numerics_bf8.has_indirect_call, 0
	.section	.AMDGPU.csdata,"",@progbits
; Kernel info:
; codeLenInByte = 3664
; TotalNumSgprs: 17
; NumVgprs: 24
; ScratchSize: 0
; MemoryBound: 0
; FloatMode: 240
; IeeeMode: 1
; LDSByteSize: 4096 bytes/workgroup (compile time only)
; SGPRBlocks: 0
; VGPRBlocks: 2
; NumSGPRsForWavesPerEU: 17
; NumVGPRsForWavesPerEU: 24
; Occupancy: 16
; WaveLimiterHint : 0
; COMPUTE_PGM_RSRC2:SCRATCH_EN: 0
; COMPUTE_PGM_RSRC2:USER_SGPR: 6
; COMPUTE_PGM_RSRC2:TRAP_HANDLER: 0
; COMPUTE_PGM_RSRC2:TGID_X_EN: 1
; COMPUTE_PGM_RSRC2:TGID_Y_EN: 0
; COMPUTE_PGM_RSRC2:TGID_Z_EN: 0
; COMPUTE_PGM_RSRC2:TIDIG_COMP_CNT: 0
	.text
	.p2alignl 6, 3214868480
	.fill 48, 4, 3214868480
	.section	.AMDGPU.gpr_maximums,"",@progbits
	.set amdgpu.max_num_vgpr, 0
	.set amdgpu.max_num_agpr, 0
	.set amdgpu.max_num_sgpr, 0
	.text
	.type	__hip_cuid_9a5c72d9dd2c992c,@object ; @__hip_cuid_9a5c72d9dd2c992c
	.section	.bss,"aw",@nobits
	.globl	__hip_cuid_9a5c72d9dd2c992c
__hip_cuid_9a5c72d9dd2c992c:
	.byte	0                               ; 0x0
	.size	__hip_cuid_9a5c72d9dd2c992c, 1

	.ident	"AMD clang version 22.0.0git (https://github.com/RadeonOpenCompute/llvm-project roc-7.2.4 26084 f58b06dce1f9c15707c5f808fd002e18c2accf7e)"
	.section	".note.GNU-stack","",@progbits
	.addrsig
	.addrsig_sym __hip_cuid_9a5c72d9dd2c992c
	.amdgpu_metadata
---
amdhsa.kernels:
  - .args:
      - .actual_access:  read_only
        .address_space:  global
        .offset:         0
        .size:           8
        .value_kind:     global_buffer
      - .offset:         8
        .size:           8
        .value_kind:     by_value
      - .address_space:  global
        .offset:         16
        .size:           8
        .value_kind:     global_buffer
      - .offset:         24
        .size:           1
        .value_kind:     by_value
      - .offset:         32
        .size:           4
        .value_kind:     hidden_block_count_x
      - .offset:         36
        .size:           4
        .value_kind:     hidden_block_count_y
      - .offset:         40
        .size:           4
        .value_kind:     hidden_block_count_z
      - .offset:         44
        .size:           2
        .value_kind:     hidden_group_size_x
      - .offset:         46
        .size:           2
        .value_kind:     hidden_group_size_y
      - .offset:         48
        .size:           2
        .value_kind:     hidden_group_size_z
      - .offset:         50
        .size:           2
        .value_kind:     hidden_remainder_x
      - .offset:         52
        .size:           2
        .value_kind:     hidden_remainder_y
      - .offset:         54
        .size:           2
        .value_kind:     hidden_remainder_z
      - .offset:         72
        .size:           8
        .value_kind:     hidden_global_offset_x
      - .offset:         80
        .size:           8
        .value_kind:     hidden_global_offset_y
      - .offset:         88
        .size:           8
        .value_kind:     hidden_global_offset_z
      - .offset:         96
        .size:           2
        .value_kind:     hidden_grid_dims
    .group_segment_fixed_size: 4096
    .kernarg_segment_align: 8
    .kernarg_segment_size: 288
    .language:       OpenCL C
    .language_version:
      - 2
      - 0
    .max_flat_workgroup_size: 1024
    .name:           check_numerics_fp32
    .private_segment_fixed_size: 0
    .sgpr_count:     14
    .sgpr_spill_count: 0
    .symbol:         check_numerics_fp32.kd
    .uniform_work_group_size: 1
    .uses_dynamic_stack: false
    .vgpr_count:     16
    .vgpr_spill_count: 0
    .wavefront_size: 32
    .workgroup_processor_mode: 1
  - .args:
      - .actual_access:  read_only
        .address_space:  global
        .offset:         0
        .size:           8
        .value_kind:     global_buffer
      - .offset:         8
        .size:           8
        .value_kind:     by_value
      - .address_space:  global
        .offset:         16
        .size:           8
        .value_kind:     global_buffer
      - .offset:         24
        .size:           1
        .value_kind:     by_value
      - .offset:         32
        .size:           4
        .value_kind:     hidden_block_count_x
      - .offset:         36
        .size:           4
        .value_kind:     hidden_block_count_y
      - .offset:         40
        .size:           4
        .value_kind:     hidden_block_count_z
      - .offset:         44
        .size:           2
        .value_kind:     hidden_group_size_x
      - .offset:         46
        .size:           2
        .value_kind:     hidden_group_size_y
      - .offset:         48
        .size:           2
        .value_kind:     hidden_group_size_z
      - .offset:         50
        .size:           2
        .value_kind:     hidden_remainder_x
      - .offset:         52
        .size:           2
        .value_kind:     hidden_remainder_y
      - .offset:         54
        .size:           2
        .value_kind:     hidden_remainder_z
      - .offset:         72
        .size:           8
        .value_kind:     hidden_global_offset_x
      - .offset:         80
        .size:           8
        .value_kind:     hidden_global_offset_y
      - .offset:         88
        .size:           8
        .value_kind:     hidden_global_offset_z
      - .offset:         96
        .size:           2
        .value_kind:     hidden_grid_dims
    .group_segment_fixed_size: 4096
    .kernarg_segment_align: 8
    .kernarg_segment_size: 288
    .language:       OpenCL C
    .language_version:
      - 2
      - 0
    .max_flat_workgroup_size: 1024
    .name:           check_numerics_fp16
    .private_segment_fixed_size: 0
    .sgpr_count:     14
    .sgpr_spill_count: 0
    .symbol:         check_numerics_fp16.kd
    .uniform_work_group_size: 1
    .uses_dynamic_stack: false
    .vgpr_count:     16
    .vgpr_spill_count: 0
    .wavefront_size: 32
    .workgroup_processor_mode: 1
  - .args:
      - .actual_access:  read_only
        .address_space:  global
        .offset:         0
        .size:           8
        .value_kind:     global_buffer
      - .offset:         8
        .size:           8
        .value_kind:     by_value
      - .address_space:  global
        .offset:         16
        .size:           8
        .value_kind:     global_buffer
      - .offset:         24
        .size:           1
        .value_kind:     by_value
      - .offset:         32
        .size:           4
        .value_kind:     hidden_block_count_x
      - .offset:         36
        .size:           4
        .value_kind:     hidden_block_count_y
      - .offset:         40
        .size:           4
        .value_kind:     hidden_block_count_z
      - .offset:         44
        .size:           2
        .value_kind:     hidden_group_size_x
      - .offset:         46
        .size:           2
        .value_kind:     hidden_group_size_y
      - .offset:         48
        .size:           2
        .value_kind:     hidden_group_size_z
      - .offset:         50
        .size:           2
        .value_kind:     hidden_remainder_x
      - .offset:         52
        .size:           2
        .value_kind:     hidden_remainder_y
      - .offset:         54
        .size:           2
        .value_kind:     hidden_remainder_z
      - .offset:         72
        .size:           8
        .value_kind:     hidden_global_offset_x
      - .offset:         80
        .size:           8
        .value_kind:     hidden_global_offset_y
      - .offset:         88
        .size:           8
        .value_kind:     hidden_global_offset_z
      - .offset:         96
        .size:           2
        .value_kind:     hidden_grid_dims
    .group_segment_fixed_size: 4096
    .kernarg_segment_align: 8
    .kernarg_segment_size: 288
    .language:       OpenCL C
    .language_version:
      - 2
      - 0
    .max_flat_workgroup_size: 1024
    .name:           check_numerics_bf16
    .private_segment_fixed_size: 0
    .sgpr_count:     14
    .sgpr_spill_count: 0
    .symbol:         check_numerics_bf16.kd
    .uniform_work_group_size: 1
    .uses_dynamic_stack: false
    .vgpr_count:     18
    .vgpr_spill_count: 0
    .wavefront_size: 32
    .workgroup_processor_mode: 1
  - .args:
      - .actual_access:  read_only
        .address_space:  global
        .offset:         0
        .size:           8
        .value_kind:     global_buffer
      - .offset:         8
        .size:           8
        .value_kind:     by_value
      - .address_space:  global
        .offset:         16
        .size:           8
        .value_kind:     global_buffer
      - .offset:         24
        .size:           1
        .value_kind:     by_value
      - .offset:         32
        .size:           4
        .value_kind:     hidden_block_count_x
      - .offset:         36
        .size:           4
        .value_kind:     hidden_block_count_y
      - .offset:         40
        .size:           4
        .value_kind:     hidden_block_count_z
      - .offset:         44
        .size:           2
        .value_kind:     hidden_group_size_x
      - .offset:         46
        .size:           2
        .value_kind:     hidden_group_size_y
      - .offset:         48
        .size:           2
        .value_kind:     hidden_group_size_z
      - .offset:         50
        .size:           2
        .value_kind:     hidden_remainder_x
      - .offset:         52
        .size:           2
        .value_kind:     hidden_remainder_y
      - .offset:         54
        .size:           2
        .value_kind:     hidden_remainder_z
      - .offset:         72
        .size:           8
        .value_kind:     hidden_global_offset_x
      - .offset:         80
        .size:           8
        .value_kind:     hidden_global_offset_y
      - .offset:         88
        .size:           8
        .value_kind:     hidden_global_offset_z
      - .offset:         96
        .size:           2
        .value_kind:     hidden_grid_dims
    .group_segment_fixed_size: 4096
    .kernarg_segment_align: 8
    .kernarg_segment_size: 288
    .language:       OpenCL C
    .language_version:
      - 2
      - 0
    .max_flat_workgroup_size: 1024
    .name:           check_numerics_fp8
    .private_segment_fixed_size: 0
    .sgpr_count:     17
    .sgpr_spill_count: 0
    .symbol:         check_numerics_fp8.kd
    .uniform_work_group_size: 1
    .uses_dynamic_stack: false
    .vgpr_count:     24
    .vgpr_spill_count: 0
    .wavefront_size: 32
    .workgroup_processor_mode: 1
  - .args:
      - .actual_access:  read_only
        .address_space:  global
        .offset:         0
        .size:           8
        .value_kind:     global_buffer
      - .offset:         8
        .size:           8
        .value_kind:     by_value
      - .address_space:  global
        .offset:         16
        .size:           8
        .value_kind:     global_buffer
      - .offset:         24
        .size:           1
        .value_kind:     by_value
      - .offset:         32
        .size:           4
        .value_kind:     hidden_block_count_x
      - .offset:         36
        .size:           4
        .value_kind:     hidden_block_count_y
      - .offset:         40
        .size:           4
        .value_kind:     hidden_block_count_z
      - .offset:         44
        .size:           2
        .value_kind:     hidden_group_size_x
      - .offset:         46
        .size:           2
        .value_kind:     hidden_group_size_y
      - .offset:         48
        .size:           2
        .value_kind:     hidden_group_size_z
      - .offset:         50
        .size:           2
        .value_kind:     hidden_remainder_x
      - .offset:         52
        .size:           2
        .value_kind:     hidden_remainder_y
      - .offset:         54
        .size:           2
        .value_kind:     hidden_remainder_z
      - .offset:         72
        .size:           8
        .value_kind:     hidden_global_offset_x
      - .offset:         80
        .size:           8
        .value_kind:     hidden_global_offset_y
      - .offset:         88
        .size:           8
        .value_kind:     hidden_global_offset_z
      - .offset:         96
        .size:           2
        .value_kind:     hidden_grid_dims
    .group_segment_fixed_size: 4096
    .kernarg_segment_align: 8
    .kernarg_segment_size: 288
    .language:       OpenCL C
    .language_version:
      - 2
      - 0
    .max_flat_workgroup_size: 1024
    .name:           check_numerics_bf8
    .private_segment_fixed_size: 0
    .sgpr_count:     17
    .sgpr_spill_count: 0
    .symbol:         check_numerics_bf8.kd
    .uniform_work_group_size: 1
    .uses_dynamic_stack: false
    .vgpr_count:     24
    .vgpr_spill_count: 0
    .wavefront_size: 32
    .workgroup_processor_mode: 1
amdhsa.target:   amdgcn-amd-amdhsa--gfx1030
amdhsa.version:
  - 1
  - 2
...

	.end_amdgpu_metadata
